;; amdgpu-corpus repo=ggml-org/llama.cpp kind=compiled arch=gfx1250 opt=O3
	.amdgcn_target "amdgcn-amd-amdhsa--gfx1250"
	.amdhsa_code_object_version 6
	.text
	.p2align	2                               ; -- Begin function __ockl_printf_append_string_n
	.type	__ockl_printf_append_string_n,@function
__ockl_printf_append_string_n:          ; @__ockl_printf_append_string_n
; %bb.0:
	s_wait_loadcnt_dscnt 0x0
	s_wait_kmcnt 0x0
	v_mov_b32_e32 v2, v0
	v_mbcnt_lo_u32_b32 v30, -1, 0
	s_get_pc_i64 s[0:1]
	s_add_nc_u64 s[0:1], s[0:1], __FUNCTION__._ZL18flash_attn_ext_f16ILi64ELi64ELi32ELi1ELb0ELb0EEvPKcS1_S1_S1_S1_PKiPfP15HIP_vector_typeIfLj2EEffffjfiS5_IjLj3EEiiiiiiiiiiiliiliiiiil@rel64+4
	s_delay_alu instid0(SALU_CYCLE_1)
	s_cmp_lg_u64 s[0:1], 0
	s_cbranch_scc0 .LBB0_87
; %bb.1:
	s_load_b64 s[2:3], s[8:9], 0x50
	v_dual_mov_b32 v11, 0 :: v_dual_bitop2_b32 v0, -3, v2 bitop3:0x40
	v_mov_b64_e32 v[12:13], 0x100000002
	v_mov_b64_e32 v[34:35], s[0:1]
	v_and_b32_e32 v32, 2, v2
	s_delay_alu instid0(VALU_DEP_4)
	v_mov_b64_e32 v[6:7], v[0:1]
	s_mov_b32 s7, 0
	s_mov_b32 s6, 0
	s_branch .LBB0_3
.LBB0_2:                                ;   in Loop: Header=BB0_3 Depth=1
	s_or_b32 exec_lo, exec_lo, s10
	v_sub_nc_u64_e32 v[4:5], v[4:5], v[36:37]
	v_add_nc_u64_e32 v[34:35], v[34:35], v[36:37]
	s_delay_alu instid0(VALU_DEP_2) | instskip(SKIP_1) | instid1(SALU_CYCLE_1)
	v_cmp_eq_u64_e32 vcc_lo, 0, v[4:5]
	s_or_b32 s6, vcc_lo, s6
	s_and_not1_b32 exec_lo, exec_lo, s6
	s_cbranch_execz .LBB0_85
.LBB0_3:                                ; =>This Loop Header: Depth=1
                                        ;     Child Loop BB0_6 Depth 2
                                        ;     Child Loop BB0_14 Depth 2
	;; [unrolled: 1-line block ×11, first 2 shown]
	v_min_u64 v[36:37], v[4:5], 56
	s_delay_alu instid0(VALU_DEP_3)
	v_add_nc_u64_e32 v[16:17], 8, v[34:35]
	s_mov_b32 s0, exec_lo
	v_cmpx_gt_u64_e32 8, v[4:5]
	s_xor_b32 s4, exec_lo, s0
	s_cbranch_execz .LBB0_9
; %bb.4:                                ;   in Loop: Header=BB0_3 Depth=1
	v_mov_b64_e32 v[8:9], 0
	s_mov_b32 s5, exec_lo
	v_cmpx_ne_u64_e32 0, v[4:5]
	s_cbranch_execz .LBB0_8
; %bb.5:                                ;   in Loop: Header=BB0_3 Depth=1
	v_mov_b64_e32 v[8:9], 0
	v_mov_b64_e32 v[14:15], v[34:35]
	v_lshlrev_b32_e32 v0, 3, v36
	s_mov_b64 s[0:1], 0
	s_mov_b32 s10, 0
.LBB0_6:                                ;   Parent Loop BB0_3 Depth=1
                                        ; =>  This Inner Loop Header: Depth=2
	global_load_u8 v3, v[14:15], off
	v_mov_b32_e32 v17, s7
	s_wait_xcnt 0x0
	v_add_nc_u64_e32 v[14:15], 1, v[14:15]
	s_wait_loadcnt 0x0
	v_and_b32_e32 v16, 0xffff, v3
	s_delay_alu instid0(VALU_DEP_1) | instskip(SKIP_1) | instid1(SALU_CYCLE_1)
	v_lshlrev_b64_e32 v[16:17], s0, v[16:17]
	s_add_nc_u64 s[0:1], s[0:1], 8
	v_cmp_eq_u32_e32 vcc_lo, s0, v0
	s_delay_alu instid0(VALU_DEP_2) | instskip(NEXT) | instid1(VALU_DEP_3)
	v_or_b32_e32 v9, v17, v9
	v_or_b32_e32 v8, v16, v8
	s_or_b32 s10, vcc_lo, s10
	s_delay_alu instid0(SALU_CYCLE_1)
	s_and_not1_b32 exec_lo, exec_lo, s10
	s_cbranch_execnz .LBB0_6
; %bb.7:                                ;   in Loop: Header=BB0_3 Depth=1
	s_or_b32 exec_lo, exec_lo, s10
.LBB0_8:                                ;   in Loop: Header=BB0_3 Depth=1
	s_delay_alu instid0(SALU_CYCLE_1)
	s_or_b32 exec_lo, exec_lo, s5
	v_mov_b64_e32 v[16:17], v[34:35]
.LBB0_9:                                ;   in Loop: Header=BB0_3 Depth=1
	s_or_saveexec_b32 s0, s4
	v_mov_b32_e32 v0, 0
	s_xor_b32 exec_lo, exec_lo, s0
	s_cbranch_execz .LBB0_11
; %bb.10:                               ;   in Loop: Header=BB0_3 Depth=1
	global_load_b64 v[8:9], v[34:35], off
	v_add_nc_u32_e32 v0, -8, v36
.LBB0_11:                               ;   in Loop: Header=BB0_3 Depth=1
	s_wait_xcnt 0x0
	s_or_b32 exec_lo, exec_lo, s0
	v_add_nc_u64_e32 v[18:19], 8, v[16:17]
                                        ; implicit-def: $vgpr14_vgpr15
	s_mov_b32 s0, exec_lo
	v_cmpx_gt_u32_e32 8, v0
	s_xor_b32 s10, exec_lo, s0
	s_cbranch_execz .LBB0_17
; %bb.12:                               ;   in Loop: Header=BB0_3 Depth=1
	v_mov_b64_e32 v[14:15], 0
	s_mov_b32 s11, exec_lo
	v_cmpx_ne_u32_e32 0, v0
	s_cbranch_execz .LBB0_16
; %bb.13:                               ;   in Loop: Header=BB0_3 Depth=1
	v_mov_b64_e32 v[14:15], 0
	s_mov_b64 s[0:1], 0
	s_mov_b32 s12, 0
	s_mov_b64 s[4:5], 0
.LBB0_14:                               ;   Parent Loop BB0_3 Depth=1
                                        ; =>  This Inner Loop Header: Depth=2
	s_delay_alu instid0(SALU_CYCLE_1) | instskip(SKIP_1) | instid1(SALU_CYCLE_1)
	v_add_nc_u64_e32 v[18:19], s[4:5], v[16:17]
	s_add_nc_u64 s[4:5], s[4:5], 1
	v_cmp_eq_u32_e32 vcc_lo, s4, v0
	global_load_u8 v3, v[18:19], off
	s_wait_xcnt 0x0
	v_mov_b32_e32 v19, s7
	s_or_b32 s12, vcc_lo, s12
	s_wait_loadcnt 0x0
	v_and_b32_e32 v18, 0xffff, v3
	s_delay_alu instid0(VALU_DEP_1) | instskip(SKIP_1) | instid1(VALU_DEP_1)
	v_lshlrev_b64_e32 v[18:19], s0, v[18:19]
	s_add_nc_u64 s[0:1], s[0:1], 8
	v_or_b32_e32 v15, v19, v15
	s_delay_alu instid0(VALU_DEP_2)
	v_or_b32_e32 v14, v18, v14
	s_and_not1_b32 exec_lo, exec_lo, s12
	s_cbranch_execnz .LBB0_14
; %bb.15:                               ;   in Loop: Header=BB0_3 Depth=1
	s_or_b32 exec_lo, exec_lo, s12
.LBB0_16:                               ;   in Loop: Header=BB0_3 Depth=1
	s_delay_alu instid0(SALU_CYCLE_1)
	s_or_b32 exec_lo, exec_lo, s11
	v_mov_b64_e32 v[18:19], v[16:17]
                                        ; implicit-def: $vgpr0
.LBB0_17:                               ;   in Loop: Header=BB0_3 Depth=1
	s_or_saveexec_b32 s0, s10
	v_mov_b32_e32 v3, 0
	s_xor_b32 exec_lo, exec_lo, s0
	s_cbranch_execz .LBB0_19
; %bb.18:                               ;   in Loop: Header=BB0_3 Depth=1
	global_load_b64 v[14:15], v[16:17], off
	v_add_nc_u32_e32 v3, -8, v0
.LBB0_19:                               ;   in Loop: Header=BB0_3 Depth=1
	s_wait_xcnt 0x0
	s_or_b32 exec_lo, exec_lo, s0
	v_add_nc_u64_e32 v[20:21], 8, v[18:19]
	s_mov_b32 s0, exec_lo
	v_cmpx_gt_u32_e32 8, v3
	s_xor_b32 s10, exec_lo, s0
	s_cbranch_execz .LBB0_25
; %bb.20:                               ;   in Loop: Header=BB0_3 Depth=1
	v_mov_b64_e32 v[16:17], 0
	s_mov_b32 s11, exec_lo
	v_cmpx_ne_u32_e32 0, v3
	s_cbranch_execz .LBB0_24
; %bb.21:                               ;   in Loop: Header=BB0_3 Depth=1
	v_mov_b64_e32 v[16:17], 0
	s_mov_b64 s[0:1], 0
	s_mov_b32 s12, 0
	s_mov_b64 s[4:5], 0
.LBB0_22:                               ;   Parent Loop BB0_3 Depth=1
                                        ; =>  This Inner Loop Header: Depth=2
	s_delay_alu instid0(SALU_CYCLE_1) | instskip(SKIP_1) | instid1(SALU_CYCLE_1)
	v_add_nc_u64_e32 v[20:21], s[4:5], v[18:19]
	s_add_nc_u64 s[4:5], s[4:5], 1
	v_cmp_eq_u32_e32 vcc_lo, s4, v3
	global_load_u8 v0, v[20:21], off
	s_wait_xcnt 0x0
	v_mov_b32_e32 v21, s7
	s_or_b32 s12, vcc_lo, s12
	s_wait_loadcnt 0x0
	v_and_b32_e32 v20, 0xffff, v0
	s_delay_alu instid0(VALU_DEP_1) | instskip(SKIP_1) | instid1(VALU_DEP_1)
	v_lshlrev_b64_e32 v[20:21], s0, v[20:21]
	s_add_nc_u64 s[0:1], s[0:1], 8
	v_or_b32_e32 v17, v21, v17
	s_delay_alu instid0(VALU_DEP_2)
	v_or_b32_e32 v16, v20, v16
	s_and_not1_b32 exec_lo, exec_lo, s12
	s_cbranch_execnz .LBB0_22
; %bb.23:                               ;   in Loop: Header=BB0_3 Depth=1
	s_or_b32 exec_lo, exec_lo, s12
.LBB0_24:                               ;   in Loop: Header=BB0_3 Depth=1
	s_delay_alu instid0(SALU_CYCLE_1)
	s_or_b32 exec_lo, exec_lo, s11
	v_mov_b64_e32 v[20:21], v[18:19]
                                        ; implicit-def: $vgpr3
.LBB0_25:                               ;   in Loop: Header=BB0_3 Depth=1
	s_or_saveexec_b32 s0, s10
	v_mov_b32_e32 v0, 0
	s_xor_b32 exec_lo, exec_lo, s0
	s_cbranch_execz .LBB0_27
; %bb.26:                               ;   in Loop: Header=BB0_3 Depth=1
	global_load_b64 v[16:17], v[18:19], off
	v_add_nc_u32_e32 v0, -8, v3
.LBB0_27:                               ;   in Loop: Header=BB0_3 Depth=1
	s_wait_xcnt 0x0
	s_or_b32 exec_lo, exec_lo, s0
	v_add_nc_u64_e32 v[22:23], 8, v[20:21]
                                        ; implicit-def: $vgpr18_vgpr19
	s_mov_b32 s0, exec_lo
	v_cmpx_gt_u32_e32 8, v0
	s_xor_b32 s10, exec_lo, s0
	s_cbranch_execz .LBB0_33
; %bb.28:                               ;   in Loop: Header=BB0_3 Depth=1
	v_mov_b64_e32 v[18:19], 0
	s_mov_b32 s11, exec_lo
	v_cmpx_ne_u32_e32 0, v0
	s_cbranch_execz .LBB0_32
; %bb.29:                               ;   in Loop: Header=BB0_3 Depth=1
	v_mov_b64_e32 v[18:19], 0
	s_mov_b64 s[0:1], 0
	s_mov_b32 s12, 0
	s_mov_b64 s[4:5], 0
.LBB0_30:                               ;   Parent Loop BB0_3 Depth=1
                                        ; =>  This Inner Loop Header: Depth=2
	s_delay_alu instid0(SALU_CYCLE_1) | instskip(SKIP_1) | instid1(SALU_CYCLE_1)
	v_add_nc_u64_e32 v[22:23], s[4:5], v[20:21]
	s_add_nc_u64 s[4:5], s[4:5], 1
	v_cmp_eq_u32_e32 vcc_lo, s4, v0
	global_load_u8 v3, v[22:23], off
	s_wait_xcnt 0x0
	v_mov_b32_e32 v23, s7
	s_or_b32 s12, vcc_lo, s12
	s_wait_loadcnt 0x0
	v_and_b32_e32 v22, 0xffff, v3
	s_delay_alu instid0(VALU_DEP_1) | instskip(SKIP_1) | instid1(VALU_DEP_1)
	v_lshlrev_b64_e32 v[22:23], s0, v[22:23]
	s_add_nc_u64 s[0:1], s[0:1], 8
	v_or_b32_e32 v19, v23, v19
	s_delay_alu instid0(VALU_DEP_2)
	v_or_b32_e32 v18, v22, v18
	s_and_not1_b32 exec_lo, exec_lo, s12
	s_cbranch_execnz .LBB0_30
; %bb.31:                               ;   in Loop: Header=BB0_3 Depth=1
	s_or_b32 exec_lo, exec_lo, s12
.LBB0_32:                               ;   in Loop: Header=BB0_3 Depth=1
	s_delay_alu instid0(SALU_CYCLE_1)
	s_or_b32 exec_lo, exec_lo, s11
	v_mov_b64_e32 v[22:23], v[20:21]
                                        ; implicit-def: $vgpr0
.LBB0_33:                               ;   in Loop: Header=BB0_3 Depth=1
	s_or_saveexec_b32 s0, s10
	v_mov_b32_e32 v3, 0
	s_xor_b32 exec_lo, exec_lo, s0
	s_cbranch_execz .LBB0_35
; %bb.34:                               ;   in Loop: Header=BB0_3 Depth=1
	global_load_b64 v[18:19], v[20:21], off
	v_add_nc_u32_e32 v3, -8, v0
.LBB0_35:                               ;   in Loop: Header=BB0_3 Depth=1
	s_wait_xcnt 0x0
	s_or_b32 exec_lo, exec_lo, s0
	v_add_nc_u64_e32 v[24:25], 8, v[22:23]
	s_mov_b32 s0, exec_lo
	v_cmpx_gt_u32_e32 8, v3
	s_xor_b32 s10, exec_lo, s0
	s_cbranch_execz .LBB0_41
; %bb.36:                               ;   in Loop: Header=BB0_3 Depth=1
	v_mov_b64_e32 v[20:21], 0
	s_mov_b32 s11, exec_lo
	v_cmpx_ne_u32_e32 0, v3
	s_cbranch_execz .LBB0_40
; %bb.37:                               ;   in Loop: Header=BB0_3 Depth=1
	v_mov_b64_e32 v[20:21], 0
	s_mov_b64 s[0:1], 0
	s_mov_b32 s12, 0
	s_mov_b64 s[4:5], 0
.LBB0_38:                               ;   Parent Loop BB0_3 Depth=1
                                        ; =>  This Inner Loop Header: Depth=2
	s_delay_alu instid0(SALU_CYCLE_1) | instskip(SKIP_1) | instid1(SALU_CYCLE_1)
	v_add_nc_u64_e32 v[24:25], s[4:5], v[22:23]
	s_add_nc_u64 s[4:5], s[4:5], 1
	v_cmp_eq_u32_e32 vcc_lo, s4, v3
	global_load_u8 v0, v[24:25], off
	s_wait_xcnt 0x0
	v_mov_b32_e32 v25, s7
	s_or_b32 s12, vcc_lo, s12
	s_wait_loadcnt 0x0
	v_and_b32_e32 v24, 0xffff, v0
	s_delay_alu instid0(VALU_DEP_1) | instskip(SKIP_1) | instid1(VALU_DEP_1)
	v_lshlrev_b64_e32 v[24:25], s0, v[24:25]
	s_add_nc_u64 s[0:1], s[0:1], 8
	v_or_b32_e32 v21, v25, v21
	s_delay_alu instid0(VALU_DEP_2)
	v_or_b32_e32 v20, v24, v20
	s_and_not1_b32 exec_lo, exec_lo, s12
	s_cbranch_execnz .LBB0_38
; %bb.39:                               ;   in Loop: Header=BB0_3 Depth=1
	s_or_b32 exec_lo, exec_lo, s12
.LBB0_40:                               ;   in Loop: Header=BB0_3 Depth=1
	s_delay_alu instid0(SALU_CYCLE_1)
	s_or_b32 exec_lo, exec_lo, s11
	v_mov_b64_e32 v[24:25], v[22:23]
                                        ; implicit-def: $vgpr3
.LBB0_41:                               ;   in Loop: Header=BB0_3 Depth=1
	s_or_saveexec_b32 s0, s10
	v_mov_b32_e32 v0, 0
	s_xor_b32 exec_lo, exec_lo, s0
	s_cbranch_execz .LBB0_43
; %bb.42:                               ;   in Loop: Header=BB0_3 Depth=1
	global_load_b64 v[20:21], v[22:23], off
	v_add_nc_u32_e32 v0, -8, v3
.LBB0_43:                               ;   in Loop: Header=BB0_3 Depth=1
	s_wait_xcnt 0x0
	s_or_b32 exec_lo, exec_lo, s0
	v_add_nc_u64_e32 v[26:27], 8, v[24:25]
                                        ; implicit-def: $vgpr22_vgpr23
	s_mov_b32 s0, exec_lo
	v_cmpx_gt_u32_e32 8, v0
	s_xor_b32 s10, exec_lo, s0
	s_cbranch_execz .LBB0_49
; %bb.44:                               ;   in Loop: Header=BB0_3 Depth=1
	v_mov_b64_e32 v[22:23], 0
	s_mov_b32 s11, exec_lo
	v_cmpx_ne_u32_e32 0, v0
	s_cbranch_execz .LBB0_48
; %bb.45:                               ;   in Loop: Header=BB0_3 Depth=1
	v_mov_b64_e32 v[22:23], 0
	s_mov_b64 s[0:1], 0
	s_mov_b32 s12, 0
	s_mov_b64 s[4:5], 0
.LBB0_46:                               ;   Parent Loop BB0_3 Depth=1
                                        ; =>  This Inner Loop Header: Depth=2
	s_delay_alu instid0(SALU_CYCLE_1) | instskip(SKIP_1) | instid1(SALU_CYCLE_1)
	v_add_nc_u64_e32 v[26:27], s[4:5], v[24:25]
	s_add_nc_u64 s[4:5], s[4:5], 1
	v_cmp_eq_u32_e32 vcc_lo, s4, v0
	global_load_u8 v3, v[26:27], off
	s_wait_xcnt 0x0
	v_mov_b32_e32 v27, s7
	s_or_b32 s12, vcc_lo, s12
	s_wait_loadcnt 0x0
	v_and_b32_e32 v26, 0xffff, v3
	s_delay_alu instid0(VALU_DEP_1) | instskip(SKIP_1) | instid1(VALU_DEP_1)
	v_lshlrev_b64_e32 v[26:27], s0, v[26:27]
	s_add_nc_u64 s[0:1], s[0:1], 8
	v_or_b32_e32 v23, v27, v23
	s_delay_alu instid0(VALU_DEP_2)
	v_or_b32_e32 v22, v26, v22
	s_and_not1_b32 exec_lo, exec_lo, s12
	s_cbranch_execnz .LBB0_46
; %bb.47:                               ;   in Loop: Header=BB0_3 Depth=1
	s_or_b32 exec_lo, exec_lo, s12
.LBB0_48:                               ;   in Loop: Header=BB0_3 Depth=1
	s_delay_alu instid0(SALU_CYCLE_1)
	s_or_b32 exec_lo, exec_lo, s11
	v_mov_b64_e32 v[26:27], v[24:25]
                                        ; implicit-def: $vgpr0
.LBB0_49:                               ;   in Loop: Header=BB0_3 Depth=1
	s_or_saveexec_b32 s0, s10
	v_mov_b32_e32 v3, 0
	s_xor_b32 exec_lo, exec_lo, s0
	s_cbranch_execz .LBB0_51
; %bb.50:                               ;   in Loop: Header=BB0_3 Depth=1
	global_load_b64 v[22:23], v[24:25], off
	v_add_nc_u32_e32 v3, -8, v0
.LBB0_51:                               ;   in Loop: Header=BB0_3 Depth=1
	s_wait_xcnt 0x0
	s_or_b32 exec_lo, exec_lo, s0
	s_delay_alu instid0(SALU_CYCLE_1) | instskip(NEXT) | instid1(VALU_DEP_1)
	s_mov_b32 s0, exec_lo
	v_cmpx_gt_u32_e32 8, v3
	s_xor_b32 s4, exec_lo, s0
	s_cbranch_execz .LBB0_57
; %bb.52:                               ;   in Loop: Header=BB0_3 Depth=1
	v_mov_b64_e32 v[24:25], 0
	s_mov_b32 s5, exec_lo
	v_cmpx_ne_u32_e32 0, v3
	s_cbranch_execz .LBB0_56
; %bb.53:                               ;   in Loop: Header=BB0_3 Depth=1
	v_mov_b64_e32 v[24:25], 0
	s_mov_b64 s[0:1], 0
	s_mov_b32 s10, 0
.LBB0_54:                               ;   Parent Loop BB0_3 Depth=1
                                        ; =>  This Inner Loop Header: Depth=2
	global_load_u8 v0, v[26:27], off
	v_dual_mov_b32 v29, s7 :: v_dual_add_nc_u32 v3, -1, v3
	s_wait_xcnt 0x0
	v_add_nc_u64_e32 v[26:27], 1, v[26:27]
	s_delay_alu instid0(VALU_DEP_2) | instskip(SKIP_3) | instid1(VALU_DEP_1)
	v_cmp_eq_u32_e32 vcc_lo, 0, v3
	s_or_b32 s10, vcc_lo, s10
	s_wait_loadcnt 0x0
	v_and_b32_e32 v28, 0xffff, v0
	v_lshlrev_b64_e32 v[28:29], s0, v[28:29]
	s_add_nc_u64 s[0:1], s[0:1], 8
	s_delay_alu instid0(VALU_DEP_1) | instskip(NEXT) | instid1(VALU_DEP_2)
	v_or_b32_e32 v25, v29, v25
	v_or_b32_e32 v24, v28, v24
	s_and_not1_b32 exec_lo, exec_lo, s10
	s_cbranch_execnz .LBB0_54
; %bb.55:                               ;   in Loop: Header=BB0_3 Depth=1
	s_or_b32 exec_lo, exec_lo, s10
.LBB0_56:                               ;   in Loop: Header=BB0_3 Depth=1
	s_delay_alu instid0(SALU_CYCLE_1)
	s_or_b32 exec_lo, exec_lo, s5
                                        ; implicit-def: $vgpr26_vgpr27
.LBB0_57:                               ;   in Loop: Header=BB0_3 Depth=1
	s_and_not1_saveexec_b32 s0, s4
	s_cbranch_execz .LBB0_59
; %bb.58:                               ;   in Loop: Header=BB0_3 Depth=1
	global_load_b64 v[24:25], v[26:27], off
.LBB0_59:                               ;   in Loop: Header=BB0_3 Depth=1
	s_wait_xcnt 0x0
	s_or_b32 exec_lo, exec_lo, s0
	v_readfirstlane_b32 s0, v30
	v_mov_b64_e32 v[38:39], 0
	s_delay_alu instid0(VALU_DEP_2)
	v_cmp_eq_u32_e64 s0, s0, v30
	s_and_saveexec_b32 s1, s0
	s_cbranch_execz .LBB0_65
; %bb.60:                               ;   in Loop: Header=BB0_3 Depth=1
	s_wait_kmcnt 0x0
	global_load_b64 v[28:29], v11, s[2:3] offset:24 scope:SCOPE_SYS
	s_wait_loadcnt 0x0
	global_inv scope:SCOPE_SYS
	s_clause 0x1
	global_load_b64 v[26:27], v11, s[2:3] offset:40
	global_load_b64 v[38:39], v11, s[2:3]
	s_mov_b32 s4, exec_lo
	s_wait_loadcnt 0x1
	v_and_b32_e32 v26, v26, v28
	v_and_b32_e32 v27, v27, v29
	s_delay_alu instid0(VALU_DEP_1) | instskip(SKIP_1) | instid1(VALU_DEP_1)
	v_mul_u64_e32 v[26:27], 24, v[26:27]
	s_wait_loadcnt 0x0
	v_add_nc_u64_e32 v[26:27], v[38:39], v[26:27]
	global_load_b64 v[26:27], v[26:27], off scope:SCOPE_SYS
	s_wait_xcnt 0x0
	s_wait_loadcnt 0x0
	global_atomic_cmpswap_b64 v[38:39], v11, v[26:29], s[2:3] offset:24 th:TH_ATOMIC_RETURN scope:SCOPE_SYS
	s_wait_loadcnt 0x0
	global_inv scope:SCOPE_SYS
	s_wait_xcnt 0x0
	v_cmpx_ne_u64_e64 v[38:39], v[28:29]
	s_cbranch_execz .LBB0_64
; %bb.61:                               ;   in Loop: Header=BB0_3 Depth=1
	s_mov_b32 s5, 0
.LBB0_62:                               ;   Parent Loop BB0_3 Depth=1
                                        ; =>  This Inner Loop Header: Depth=2
	s_sleep 1
	s_clause 0x1
	global_load_b64 v[26:27], v11, s[2:3] offset:40
	global_load_b64 v[48:49], v11, s[2:3]
	v_mov_b64_e32 v[28:29], v[38:39]
	s_wait_loadcnt 0x1
	s_delay_alu instid0(VALU_DEP_1) | instskip(SKIP_1) | instid1(VALU_DEP_1)
	v_and_b32_e32 v0, v26, v28
	s_wait_loadcnt 0x0
	v_mad_nc_u64_u32 v[38:39], v0, 24, v[48:49]
	s_delay_alu instid0(VALU_DEP_3) | instskip(NEXT) | instid1(VALU_DEP_1)
	v_and_b32_e32 v0, v27, v29
	v_mad_u32 v39, v0, 24, v39
	global_load_b64 v[26:27], v[38:39], off scope:SCOPE_SYS
	s_wait_xcnt 0x0
	s_wait_loadcnt 0x0
	global_atomic_cmpswap_b64 v[38:39], v11, v[26:29], s[2:3] offset:24 th:TH_ATOMIC_RETURN scope:SCOPE_SYS
	s_wait_loadcnt 0x0
	global_inv scope:SCOPE_SYS
	v_cmp_eq_u64_e32 vcc_lo, v[38:39], v[28:29]
	s_or_b32 s5, vcc_lo, s5
	s_wait_xcnt 0x0
	s_and_not1_b32 exec_lo, exec_lo, s5
	s_cbranch_execnz .LBB0_62
; %bb.63:                               ;   in Loop: Header=BB0_3 Depth=1
	s_or_b32 exec_lo, exec_lo, s5
.LBB0_64:                               ;   in Loop: Header=BB0_3 Depth=1
	s_delay_alu instid0(SALU_CYCLE_1)
	s_or_b32 exec_lo, exec_lo, s4
.LBB0_65:                               ;   in Loop: Header=BB0_3 Depth=1
	s_delay_alu instid0(SALU_CYCLE_1)
	s_or_b32 exec_lo, exec_lo, s1
	s_wait_kmcnt 0x0
	s_clause 0x1
	global_load_b64 v[48:49], v11, s[2:3] offset:40
	global_load_b128 v[26:29], v11, s[2:3]
	v_readfirstlane_b32 s4, v38
	v_readfirstlane_b32 s5, v39
	s_mov_b32 s1, exec_lo
	s_wait_loadcnt 0x1
	v_and_b32_e32 v48, s4, v48
	v_and_b32_e32 v49, s5, v49
	s_delay_alu instid0(VALU_DEP_1) | instskip(SKIP_1) | instid1(VALU_DEP_1)
	v_mul_u64_e32 v[38:39], 24, v[48:49]
	s_wait_loadcnt 0x0
	v_add_nc_u64_e32 v[38:39], v[26:27], v[38:39]
	s_wait_xcnt 0x0
	s_and_saveexec_b32 s10, s0
	s_cbranch_execz .LBB0_67
; %bb.66:                               ;   in Loop: Header=BB0_3 Depth=1
	v_mov_b32_e32 v10, s1
	global_store_b128 v[38:39], v[10:13], off offset:8
.LBB0_67:                               ;   in Loop: Header=BB0_3 Depth=1
	s_wait_xcnt 0x0
	s_or_b32 exec_lo, exec_lo, s10
	v_cmp_gt_u64_e32 vcc_lo, 57, v[4:5]
	v_lshlrev_b64_e32 v[48:49], 12, v[48:49]
	v_and_b32_e32 v3, 0xffffff1f, v6
	v_lshl_add_u32 v6, v36, 2, 28
	v_dual_lshlrev_b32 v10, 6, v30 :: v_dual_cndmask_b32 v0, 0, v32, vcc_lo
	s_delay_alu instid0(VALU_DEP_4) | instskip(NEXT) | instid1(VALU_DEP_2)
	v_add_nc_u64_e32 v[28:29], v[28:29], v[48:49]
	v_or_b32_e32 v0, v3, v0
	s_delay_alu instid0(VALU_DEP_2) | instskip(NEXT) | instid1(VALU_DEP_3)
	v_readfirstlane_b32 s10, v28
	v_readfirstlane_b32 s11, v29
	s_delay_alu instid0(VALU_DEP_3)
	v_and_or_b32 v6, 0x1e0, v6, v0
	s_clause 0x3
	global_store_b128 v10, v[6:9], s[10:11]
	global_store_b128 v10, v[14:17], s[10:11] offset:16
	global_store_b128 v10, v[18:21], s[10:11] offset:32
	global_store_b128 v10, v[22:25], s[10:11] offset:48
	s_wait_xcnt 0x0
	s_and_saveexec_b32 s1, s0
	s_cbranch_execz .LBB0_75
; %bb.68:                               ;   in Loop: Header=BB0_3 Depth=1
	s_clause 0x1
	global_load_b64 v[18:19], v11, s[2:3] offset:32 scope:SCOPE_SYS
	global_load_b64 v[6:7], v11, s[2:3] offset:40
	s_mov_b32 s10, exec_lo
	v_dual_mov_b32 v16, s4 :: v_dual_mov_b32 v17, s5
	s_wait_loadcnt 0x0
	v_and_b32_e32 v7, s5, v7
	v_and_b32_e32 v6, s4, v6
	s_delay_alu instid0(VALU_DEP_1) | instskip(NEXT) | instid1(VALU_DEP_1)
	v_mul_u64_e32 v[6:7], 24, v[6:7]
	v_add_nc_u64_e32 v[14:15], v[26:27], v[6:7]
	global_store_b64 v[14:15], v[18:19], off
	global_wb scope:SCOPE_SYS
	s_wait_storecnt 0x0
	s_wait_xcnt 0x0
	global_atomic_cmpswap_b64 v[8:9], v11, v[16:19], s[2:3] offset:32 th:TH_ATOMIC_RETURN scope:SCOPE_SYS
	s_wait_loadcnt 0x0
	v_cmpx_ne_u64_e64 v[8:9], v[18:19]
	s_cbranch_execz .LBB0_71
; %bb.69:                               ;   in Loop: Header=BB0_3 Depth=1
	s_mov_b32 s11, 0
.LBB0_70:                               ;   Parent Loop BB0_3 Depth=1
                                        ; =>  This Inner Loop Header: Depth=2
	v_dual_mov_b32 v6, s4 :: v_dual_mov_b32 v7, s5
	s_sleep 1
	global_store_b64 v[14:15], v[8:9], off
	global_wb scope:SCOPE_SYS
	s_wait_storecnt 0x0
	s_wait_xcnt 0x0
	global_atomic_cmpswap_b64 v[6:7], v11, v[6:9], s[2:3] offset:32 th:TH_ATOMIC_RETURN scope:SCOPE_SYS
	s_wait_loadcnt 0x0
	v_cmp_eq_u64_e32 vcc_lo, v[6:7], v[8:9]
	v_mov_b64_e32 v[8:9], v[6:7]
	s_or_b32 s11, vcc_lo, s11
	s_delay_alu instid0(SALU_CYCLE_1)
	s_and_not1_b32 exec_lo, exec_lo, s11
	s_cbranch_execnz .LBB0_70
.LBB0_71:                               ;   in Loop: Header=BB0_3 Depth=1
	s_or_b32 exec_lo, exec_lo, s10
	global_load_b64 v[6:7], v11, s[2:3] offset:16
	s_mov_b32 s11, exec_lo
	s_mov_b32 s10, exec_lo
	v_mbcnt_lo_u32_b32 v0, s11, 0
	s_wait_xcnt 0x0
	s_delay_alu instid0(VALU_DEP_1)
	v_cmpx_eq_u32_e32 0, v0
	s_cbranch_execz .LBB0_73
; %bb.72:                               ;   in Loop: Header=BB0_3 Depth=1
	s_bcnt1_i32_b32 s11, s11
	s_delay_alu instid0(SALU_CYCLE_1)
	v_dual_mov_b32 v9, v11 :: v_dual_mov_b32 v8, s11
	global_wb scope:SCOPE_SYS
	s_wait_loadcnt 0x0
	s_wait_storecnt 0x0
	global_atomic_add_u64 v[6:7], v[8:9], off offset:8 scope:SCOPE_SYS
.LBB0_73:                               ;   in Loop: Header=BB0_3 Depth=1
	s_wait_xcnt 0x0
	s_or_b32 exec_lo, exec_lo, s10
	s_wait_loadcnt 0x0
	global_load_b64 v[8:9], v[6:7], off offset:16
	s_wait_loadcnt 0x0
	v_cmp_eq_u64_e32 vcc_lo, 0, v[8:9]
	s_cbranch_vccnz .LBB0_75
; %bb.74:                               ;   in Loop: Header=BB0_3 Depth=1
	global_load_b32 v6, v[6:7], off offset:24
	s_wait_xcnt 0x0
	v_mov_b32_e32 v7, v11
	s_wait_loadcnt 0x0
	v_readfirstlane_b32 s10, v6
	global_wb scope:SCOPE_SYS
	s_wait_storecnt 0x0
	global_store_b64 v[8:9], v[6:7], off scope:SCOPE_SYS
	s_and_b32 m0, s10, 0xffffff
	s_sendmsg sendmsg(MSG_INTERRUPT)
.LBB0_75:                               ;   in Loop: Header=BB0_3 Depth=1
	s_wait_xcnt 0x0
	s_or_b32 exec_lo, exec_lo, s1
	v_add_nc_u64_e32 v[6:7], v[28:29], v[10:11]
	s_branch .LBB0_79
.LBB0_76:                               ;   in Loop: Header=BB0_79 Depth=2
	s_wait_xcnt 0x0
	s_or_b32 exec_lo, exec_lo, s1
	s_delay_alu instid0(VALU_DEP_1)
	v_readfirstlane_b32 s1, v0
	s_cmp_eq_u32 s1, 0
	s_cbranch_scc1 .LBB0_78
; %bb.77:                               ;   in Loop: Header=BB0_79 Depth=2
	s_sleep 1
	s_cbranch_execnz .LBB0_79
	s_branch .LBB0_81
.LBB0_78:                               ;   in Loop: Header=BB0_3 Depth=1
	s_branch .LBB0_81
.LBB0_79:                               ;   Parent Loop BB0_3 Depth=1
                                        ; =>  This Inner Loop Header: Depth=2
	v_mov_b32_e32 v0, 1
	s_and_saveexec_b32 s1, s0
	s_cbranch_execz .LBB0_76
; %bb.80:                               ;   in Loop: Header=BB0_79 Depth=2
	global_load_b32 v0, v[38:39], off offset:20 scope:SCOPE_SYS
	s_wait_loadcnt 0x0
	global_inv scope:SCOPE_SYS
	v_and_b32_e32 v0, 1, v0
	s_branch .LBB0_76
.LBB0_81:                               ;   in Loop: Header=BB0_3 Depth=1
	global_load_b64 v[6:7], v[6:7], off
	s_wait_xcnt 0x0
	s_and_saveexec_b32 s10, s0
	s_cbranch_execz .LBB0_2
; %bb.82:                               ;   in Loop: Header=BB0_3 Depth=1
	s_clause 0x2
	global_load_b64 v[8:9], v11, s[2:3] offset:40
	global_load_b64 v[18:19], v11, s[2:3] offset:24 scope:SCOPE_SYS
	global_load_b64 v[14:15], v11, s[2:3]
	s_wait_loadcnt 0x2
	v_readfirstlane_b32 s12, v8
	v_readfirstlane_b32 s13, v9
	s_add_nc_u64 s[0:1], s[12:13], 1
	s_delay_alu instid0(SALU_CYCLE_1) | instskip(NEXT) | instid1(SALU_CYCLE_1)
	s_add_nc_u64 s[4:5], s[0:1], s[4:5]
	s_cmp_eq_u64 s[4:5], 0
	s_cselect_b32 s1, s1, s5
	s_cselect_b32 s0, s0, s4
	s_delay_alu instid0(SALU_CYCLE_1) | instskip(SKIP_1) | instid1(SALU_CYCLE_1)
	v_dual_mov_b32 v17, s1 :: v_dual_mov_b32 v16, s0
	s_and_b64 s[4:5], s[0:1], s[12:13]
	s_mul_u64 s[4:5], s[4:5], 24
	s_wait_loadcnt 0x0
	v_add_nc_u64_e32 v[8:9], s[4:5], v[14:15]
	global_store_b64 v[8:9], v[18:19], off
	global_wb scope:SCOPE_SYS
	s_wait_storecnt 0x0
	s_wait_xcnt 0x0
	global_atomic_cmpswap_b64 v[16:17], v11, v[16:19], s[2:3] offset:24 th:TH_ATOMIC_RETURN scope:SCOPE_SYS
	s_wait_loadcnt 0x0
	v_cmp_ne_u64_e32 vcc_lo, v[16:17], v[18:19]
	s_and_b32 exec_lo, exec_lo, vcc_lo
	s_cbranch_execz .LBB0_2
; %bb.83:                               ;   in Loop: Header=BB0_3 Depth=1
	s_mov_b32 s4, 0
.LBB0_84:                               ;   Parent Loop BB0_3 Depth=1
                                        ; =>  This Inner Loop Header: Depth=2
	v_dual_mov_b32 v14, s0 :: v_dual_mov_b32 v15, s1
	s_sleep 1
	global_store_b64 v[8:9], v[16:17], off
	global_wb scope:SCOPE_SYS
	s_wait_storecnt 0x0
	s_wait_xcnt 0x0
	global_atomic_cmpswap_b64 v[14:15], v11, v[14:17], s[2:3] offset:24 th:TH_ATOMIC_RETURN scope:SCOPE_SYS
	s_wait_loadcnt 0x0
	v_cmp_eq_u64_e32 vcc_lo, v[14:15], v[16:17]
	v_mov_b64_e32 v[16:17], v[14:15]
	s_or_b32 s4, vcc_lo, s4
	s_delay_alu instid0(SALU_CYCLE_1)
	s_and_not1_b32 exec_lo, exec_lo, s4
	s_cbranch_execnz .LBB0_84
	s_branch .LBB0_2
.LBB0_85:
	s_or_b32 exec_lo, exec_lo, s6
.LBB0_86:
	s_wait_loadcnt 0x0
	v_dual_mov_b32 v0, v6 :: v_dual_mov_b32 v1, v7
	s_wait_kmcnt 0x0
	s_set_pc_i64 s[30:31]
.LBB0_87:
                                        ; implicit-def: $vgpr6_vgpr7
	s_cbranch_execz .LBB0_86
; %bb.88:
	s_load_b64 s[2:3], s[8:9], 0x50
	v_readfirstlane_b32 s0, v30
	s_wait_loadcnt 0x0
	v_mov_b64_e32 v[6:7], 0
	s_delay_alu instid0(VALU_DEP_2)
	v_cmp_eq_u32_e64 s0, s0, v30
	s_and_saveexec_b32 s1, s0
	s_cbranch_execz .LBB0_94
; %bb.89:
	v_mov_b32_e32 v0, 0
	s_mov_b32 s4, exec_lo
	s_wait_kmcnt 0x0
	global_load_b64 v[8:9], v0, s[2:3] offset:24 scope:SCOPE_SYS
	s_wait_loadcnt 0x0
	global_inv scope:SCOPE_SYS
	s_clause 0x1
	global_load_b64 v[4:5], v0, s[2:3] offset:40
	global_load_b64 v[6:7], v0, s[2:3]
	s_wait_loadcnt 0x1
	v_and_b32_e32 v4, v4, v8
	v_and_b32_e32 v5, v5, v9
	s_delay_alu instid0(VALU_DEP_1) | instskip(SKIP_1) | instid1(VALU_DEP_1)
	v_mul_u64_e32 v[4:5], 24, v[4:5]
	s_wait_loadcnt 0x0
	v_add_nc_u64_e32 v[4:5], v[6:7], v[4:5]
	global_load_b64 v[6:7], v[4:5], off scope:SCOPE_SYS
	s_wait_xcnt 0x0
	s_wait_loadcnt 0x0
	global_atomic_cmpswap_b64 v[6:7], v0, v[6:9], s[2:3] offset:24 th:TH_ATOMIC_RETURN scope:SCOPE_SYS
	s_wait_loadcnt 0x0
	global_inv scope:SCOPE_SYS
	s_wait_xcnt 0x0
	v_cmpx_ne_u64_e64 v[6:7], v[8:9]
	s_cbranch_execz .LBB0_93
; %bb.90:
	s_mov_b32 s5, 0
.LBB0_91:                               ; =>This Inner Loop Header: Depth=1
	s_sleep 1
	s_clause 0x1
	global_load_b64 v[4:5], v0, s[2:3] offset:40
	global_load_b64 v[10:11], v0, s[2:3]
	v_mov_b64_e32 v[8:9], v[6:7]
	s_wait_loadcnt 0x1
	s_delay_alu instid0(VALU_DEP_1) | instskip(SKIP_1) | instid1(VALU_DEP_1)
	v_and_b32_e32 v3, v4, v8
	s_wait_loadcnt 0x0
	v_mad_nc_u64_u32 v[6:7], v3, 24, v[10:11]
	s_delay_alu instid0(VALU_DEP_3) | instskip(NEXT) | instid1(VALU_DEP_1)
	v_and_b32_e32 v3, v5, v9
	v_mad_u32 v7, v3, 24, v7
	global_load_b64 v[6:7], v[6:7], off scope:SCOPE_SYS
	s_wait_xcnt 0x0
	s_wait_loadcnt 0x0
	global_atomic_cmpswap_b64 v[6:7], v0, v[6:9], s[2:3] offset:24 th:TH_ATOMIC_RETURN scope:SCOPE_SYS
	s_wait_loadcnt 0x0
	global_inv scope:SCOPE_SYS
	v_cmp_eq_u64_e32 vcc_lo, v[6:7], v[8:9]
	s_or_b32 s5, vcc_lo, s5
	s_wait_xcnt 0x0
	s_and_not1_b32 exec_lo, exec_lo, s5
	s_cbranch_execnz .LBB0_91
; %bb.92:
	s_or_b32 exec_lo, exec_lo, s5
.LBB0_93:
	s_delay_alu instid0(SALU_CYCLE_1)
	s_or_b32 exec_lo, exec_lo, s4
.LBB0_94:
	s_delay_alu instid0(SALU_CYCLE_1)
	s_or_b32 exec_lo, exec_lo, s1
	v_readfirstlane_b32 s4, v6
	v_mov_b32_e32 v5, 0
	v_readfirstlane_b32 s5, v7
	s_mov_b32 s1, exec_lo
	s_wait_kmcnt 0x0
	s_clause 0x1
	global_load_b64 v[12:13], v5, s[2:3] offset:40
	global_load_b128 v[8:11], v5, s[2:3]
	s_wait_loadcnt 0x1
	v_and_b32_e32 v14, s4, v12
	v_and_b32_e32 v15, s5, v13
	s_delay_alu instid0(VALU_DEP_1) | instskip(SKIP_1) | instid1(VALU_DEP_1)
	v_mul_u64_e32 v[6:7], 24, v[14:15]
	s_wait_loadcnt 0x0
	v_add_nc_u64_e32 v[12:13], v[8:9], v[6:7]
	s_wait_xcnt 0x0
	s_and_saveexec_b32 s6, s0
	s_cbranch_execz .LBB0_96
; %bb.95:
	v_mov_b64_e32 v[6:7], 0x100000002
	v_mov_b32_e32 v4, s1
	global_store_b128 v[12:13], v[4:7], off offset:8
.LBB0_96:
	s_wait_xcnt 0x0
	s_or_b32 exec_lo, exec_lo, s6
	v_lshlrev_b64_e32 v[6:7], 12, v[14:15]
	s_mov_b32 s8, 0
	v_and_or_b32 v0, 0xffffff1f, v2, 32
	s_mov_b32 s10, s8
	s_mov_b32 s11, s8
	s_mov_b32 s9, s8
	v_mov_b64_e32 v[16:17], s[10:11]
	v_add_nc_u64_e32 v[6:7], v[10:11], v[6:7]
	v_mov_b64_e32 v[14:15], s[8:9]
	v_dual_lshlrev_b32 v4, 6, v30 :: v_dual_mov_b32 v2, v5
	v_mov_b32_e32 v3, v5
	s_delay_alu instid0(VALU_DEP_4)
	v_readfirstlane_b32 s6, v6
	v_readfirstlane_b32 s7, v7
	s_clause 0x3
	global_store_b128 v4, v[0:3], s[6:7]
	global_store_b128 v4, v[14:17], s[6:7] offset:16
	global_store_b128 v4, v[14:17], s[6:7] offset:32
	;; [unrolled: 1-line block ×3, first 2 shown]
	s_wait_xcnt 0x0
	s_and_saveexec_b32 s1, s0
	s_cbranch_execz .LBB0_104
; %bb.97:
	v_dual_mov_b32 v10, 0 :: v_dual_mov_b32 v15, s5
	s_mov_b32 s6, exec_lo
	s_clause 0x1
	global_load_b64 v[16:17], v10, s[2:3] offset:32 scope:SCOPE_SYS
	global_load_b64 v[0:1], v10, s[2:3] offset:40
	s_wait_loadcnt 0x0
	v_dual_mov_b32 v14, s4 :: v_dual_bitop2_b32 v1, s5, v1 bitop3:0x40
	v_and_b32_e32 v0, s4, v0
	s_delay_alu instid0(VALU_DEP_1) | instskip(NEXT) | instid1(VALU_DEP_1)
	v_mul_u64_e32 v[0:1], 24, v[0:1]
	v_add_nc_u64_e32 v[8:9], v[8:9], v[0:1]
	global_store_b64 v[8:9], v[16:17], off
	global_wb scope:SCOPE_SYS
	s_wait_storecnt 0x0
	s_wait_xcnt 0x0
	global_atomic_cmpswap_b64 v[2:3], v10, v[14:17], s[2:3] offset:32 th:TH_ATOMIC_RETURN scope:SCOPE_SYS
	s_wait_loadcnt 0x0
	v_cmpx_ne_u64_e64 v[2:3], v[16:17]
	s_cbranch_execz .LBB0_100
; %bb.98:
	s_mov_b32 s7, 0
.LBB0_99:                               ; =>This Inner Loop Header: Depth=1
	v_dual_mov_b32 v0, s4 :: v_dual_mov_b32 v1, s5
	s_sleep 1
	global_store_b64 v[8:9], v[2:3], off
	global_wb scope:SCOPE_SYS
	s_wait_storecnt 0x0
	s_wait_xcnt 0x0
	global_atomic_cmpswap_b64 v[0:1], v10, v[0:3], s[2:3] offset:32 th:TH_ATOMIC_RETURN scope:SCOPE_SYS
	s_wait_loadcnt 0x0
	v_cmp_eq_u64_e32 vcc_lo, v[0:1], v[2:3]
	v_mov_b64_e32 v[2:3], v[0:1]
	s_or_b32 s7, vcc_lo, s7
	s_delay_alu instid0(SALU_CYCLE_1)
	s_and_not1_b32 exec_lo, exec_lo, s7
	s_cbranch_execnz .LBB0_99
.LBB0_100:
	s_or_b32 exec_lo, exec_lo, s6
	v_mov_b32_e32 v3, 0
	s_mov_b32 s7, exec_lo
	s_mov_b32 s6, exec_lo
	v_mbcnt_lo_u32_b32 v2, s7, 0
	global_load_b64 v[0:1], v3, s[2:3] offset:16
	s_wait_xcnt 0x0
	v_cmpx_eq_u32_e32 0, v2
	s_cbranch_execz .LBB0_102
; %bb.101:
	s_bcnt1_i32_b32 s7, s7
	s_delay_alu instid0(SALU_CYCLE_1)
	v_mov_b32_e32 v2, s7
	global_wb scope:SCOPE_SYS
	s_wait_loadcnt 0x0
	s_wait_storecnt 0x0
	global_atomic_add_u64 v[0:1], v[2:3], off offset:8 scope:SCOPE_SYS
.LBB0_102:
	s_wait_xcnt 0x0
	s_or_b32 exec_lo, exec_lo, s6
	s_wait_loadcnt 0x0
	global_load_b64 v[2:3], v[0:1], off offset:16
	s_wait_loadcnt 0x0
	v_cmp_eq_u64_e32 vcc_lo, 0, v[2:3]
	s_cbranch_vccnz .LBB0_104
; %bb.103:
	global_load_b32 v0, v[0:1], off offset:24
	s_wait_xcnt 0x0
	v_mov_b32_e32 v1, 0
	s_wait_loadcnt 0x0
	v_readfirstlane_b32 s6, v0
	global_wb scope:SCOPE_SYS
	s_wait_storecnt 0x0
	global_store_b64 v[2:3], v[0:1], off scope:SCOPE_SYS
	s_and_b32 m0, s6, 0xffffff
	s_sendmsg sendmsg(MSG_INTERRUPT)
.LBB0_104:
	s_wait_xcnt 0x0
	s_or_b32 exec_lo, exec_lo, s1
	v_add_nc_u64_e32 v[0:1], v[6:7], v[4:5]
	s_branch .LBB0_108
.LBB0_105:                              ;   in Loop: Header=BB0_108 Depth=1
	s_wait_xcnt 0x0
	s_or_b32 exec_lo, exec_lo, s1
	s_delay_alu instid0(VALU_DEP_1)
	v_readfirstlane_b32 s1, v2
	s_cmp_eq_u32 s1, 0
	s_cbranch_scc1 .LBB0_107
; %bb.106:                              ;   in Loop: Header=BB0_108 Depth=1
	s_sleep 1
	s_cbranch_execnz .LBB0_108
	s_branch .LBB0_110
.LBB0_107:
	s_branch .LBB0_110
.LBB0_108:                              ; =>This Inner Loop Header: Depth=1
	v_mov_b32_e32 v2, 1
	s_and_saveexec_b32 s1, s0
	s_cbranch_execz .LBB0_105
; %bb.109:                              ;   in Loop: Header=BB0_108 Depth=1
	global_load_b32 v2, v[12:13], off offset:20 scope:SCOPE_SYS
	s_wait_loadcnt 0x0
	global_inv scope:SCOPE_SYS
	v_and_b32_e32 v2, 1, v2
	s_branch .LBB0_105
.LBB0_110:
	global_load_b64 v[6:7], v[0:1], off
	s_wait_xcnt 0x0
	s_and_saveexec_b32 s6, s0
	s_cbranch_execz .LBB0_114
; %bb.111:
	v_mov_b32_e32 v8, 0
	s_clause 0x2
	global_load_b64 v[0:1], v8, s[2:3] offset:40
	global_load_b64 v[12:13], v8, s[2:3] offset:24 scope:SCOPE_SYS
	global_load_b64 v[2:3], v8, s[2:3]
	s_wait_loadcnt 0x2
	v_readfirstlane_b32 s8, v0
	v_readfirstlane_b32 s9, v1
	s_add_nc_u64 s[0:1], s[8:9], 1
	s_delay_alu instid0(SALU_CYCLE_1) | instskip(NEXT) | instid1(SALU_CYCLE_1)
	s_add_nc_u64 s[4:5], s[0:1], s[4:5]
	s_cmp_eq_u64 s[4:5], 0
	s_cselect_b32 s1, s1, s5
	s_cselect_b32 s0, s0, s4
	v_mov_b32_e32 v11, s1
	s_and_b64 s[4:5], s[0:1], s[8:9]
	v_mov_b32_e32 v10, s0
	s_mul_u64 s[4:5], s[4:5], 24
	s_wait_loadcnt 0x0
	v_add_nc_u64_e32 v[4:5], s[4:5], v[2:3]
	global_store_b64 v[4:5], v[12:13], off
	global_wb scope:SCOPE_SYS
	s_wait_storecnt 0x0
	s_wait_xcnt 0x0
	global_atomic_cmpswap_b64 v[2:3], v8, v[10:13], s[2:3] offset:24 th:TH_ATOMIC_RETURN scope:SCOPE_SYS
	s_wait_loadcnt 0x0
	v_cmp_ne_u64_e32 vcc_lo, v[2:3], v[12:13]
	s_and_b32 exec_lo, exec_lo, vcc_lo
	s_cbranch_execz .LBB0_114
; %bb.112:
	s_mov_b32 s4, 0
.LBB0_113:                              ; =>This Inner Loop Header: Depth=1
	v_dual_mov_b32 v0, s0 :: v_dual_mov_b32 v1, s1
	s_sleep 1
	global_store_b64 v[4:5], v[2:3], off
	global_wb scope:SCOPE_SYS
	s_wait_storecnt 0x0
	s_wait_xcnt 0x0
	global_atomic_cmpswap_b64 v[0:1], v8, v[0:3], s[2:3] offset:24 th:TH_ATOMIC_RETURN scope:SCOPE_SYS
	s_wait_loadcnt 0x0
	v_cmp_eq_u64_e32 vcc_lo, v[0:1], v[2:3]
	v_mov_b64_e32 v[2:3], v[0:1]
	s_or_b32 s4, vcc_lo, s4
	s_delay_alu instid0(SALU_CYCLE_1)
	s_and_not1_b32 exec_lo, exec_lo, s4
	s_cbranch_execnz .LBB0_113
.LBB0_114:
	s_or_b32 exec_lo, exec_lo, s6
	s_wait_loadcnt 0x0
	v_dual_mov_b32 v0, v6 :: v_dual_mov_b32 v1, v7
	s_wait_kmcnt 0x0
	s_set_pc_i64 s[30:31]
.Lfunc_end0:
	.size	__ockl_printf_append_string_n, .Lfunc_end0-__ockl_printf_append_string_n
                                        ; -- End function
	.set .L__ockl_printf_append_string_n.num_vgpr, 50
	.set .L__ockl_printf_append_string_n.num_agpr, 0
	.set .L__ockl_printf_append_string_n.numbered_sgpr, 32
	.set .L__ockl_printf_append_string_n.num_named_barrier, 0
	.set .L__ockl_printf_append_string_n.private_seg_size, 0
	.set .L__ockl_printf_append_string_n.uses_vcc, 1
	.set .L__ockl_printf_append_string_n.uses_flat_scratch, 0
	.set .L__ockl_printf_append_string_n.has_dyn_sized_stack, 0
	.set .L__ockl_printf_append_string_n.has_recursion, 0
	.set .L__ockl_printf_append_string_n.has_indirect_call, 0
	.section	.AMDGPU.csdata,"",@progbits
; Function info:
; codeLenInByte = 4348
; TotalNumSgprs: 34
; NumVgprs: 50
; ScratchSize: 0
; MemoryBound: 0
	.text
	.p2align	2                               ; -- Begin function __ockl_printf_append_args
	.type	__ockl_printf_append_args,@function
__ockl_printf_append_args:              ; @__ockl_printf_append_args
; %bb.0:
	s_wait_loadcnt_dscnt 0x0
	s_wait_kmcnt 0x0
	s_load_b64 s[2:3], s[8:9], 0x50
	v_mbcnt_lo_u32_b32 v5, -1, 0
	v_mov_b64_e32 v[12:13], 0
	s_delay_alu instid0(VALU_DEP_2) | instskip(NEXT) | instid1(VALU_DEP_1)
	v_readfirstlane_b32 s0, v5
	v_cmp_eq_u32_e64 s0, s0, v5
	s_and_saveexec_b32 s1, s0
	s_cbranch_execz .LBB1_6
; %bb.1:
	v_mov_b32_e32 v6, 0
	s_mov_b32 s4, exec_lo
	s_wait_kmcnt 0x0
	global_load_b64 v[10:11], v6, s[2:3] offset:24 scope:SCOPE_SYS
	s_wait_loadcnt 0x0
	global_inv scope:SCOPE_SYS
	s_clause 0x1
	global_load_b64 v[8:9], v6, s[2:3] offset:40
	global_load_b64 v[12:13], v6, s[2:3]
	s_wait_loadcnt 0x1
	v_and_b32_e32 v8, v8, v10
	v_and_b32_e32 v9, v9, v11
	s_delay_alu instid0(VALU_DEP_1) | instskip(SKIP_1) | instid1(VALU_DEP_1)
	v_mul_u64_e32 v[8:9], 24, v[8:9]
	s_wait_loadcnt 0x0
	v_add_nc_u64_e32 v[8:9], v[12:13], v[8:9]
	global_load_b64 v[8:9], v[8:9], off scope:SCOPE_SYS
	s_wait_xcnt 0x0
	s_wait_loadcnt 0x0
	global_atomic_cmpswap_b64 v[12:13], v6, v[8:11], s[2:3] offset:24 th:TH_ATOMIC_RETURN scope:SCOPE_SYS
	s_wait_loadcnt 0x0
	global_inv scope:SCOPE_SYS
	s_wait_xcnt 0x0
	v_cmpx_ne_u64_e64 v[12:13], v[10:11]
	s_cbranch_execz .LBB1_5
; %bb.2:
	s_mov_b32 s5, 0
.LBB1_3:                                ; =>This Inner Loop Header: Depth=1
	s_sleep 1
	s_clause 0x1
	global_load_b64 v[8:9], v6, s[2:3] offset:40
	global_load_b64 v[14:15], v6, s[2:3]
	v_mov_b64_e32 v[10:11], v[12:13]
	s_wait_loadcnt 0x1
	s_delay_alu instid0(VALU_DEP_1) | instskip(SKIP_1) | instid1(VALU_DEP_1)
	v_and_b32_e32 v7, v8, v10
	s_wait_loadcnt 0x0
	v_mad_nc_u64_u32 v[12:13], v7, 24, v[14:15]
	s_delay_alu instid0(VALU_DEP_3) | instskip(NEXT) | instid1(VALU_DEP_1)
	v_and_b32_e32 v7, v9, v11
	v_mad_u32 v13, v7, 24, v13
	global_load_b64 v[8:9], v[12:13], off scope:SCOPE_SYS
	s_wait_xcnt 0x0
	s_wait_loadcnt 0x0
	global_atomic_cmpswap_b64 v[12:13], v6, v[8:11], s[2:3] offset:24 th:TH_ATOMIC_RETURN scope:SCOPE_SYS
	s_wait_loadcnt 0x0
	global_inv scope:SCOPE_SYS
	v_cmp_eq_u64_e32 vcc_lo, v[12:13], v[10:11]
	s_or_b32 s5, vcc_lo, s5
	s_wait_xcnt 0x0
	s_and_not1_b32 exec_lo, exec_lo, s5
	s_cbranch_execnz .LBB1_3
; %bb.4:
	s_or_b32 exec_lo, exec_lo, s5
.LBB1_5:
	s_delay_alu instid0(SALU_CYCLE_1)
	s_or_b32 exec_lo, exec_lo, s4
.LBB1_6:
	s_delay_alu instid0(SALU_CYCLE_1)
	s_or_b32 exec_lo, exec_lo, s1
	v_readfirstlane_b32 s4, v12
	v_mov_b32_e32 v11, 0
	v_readfirstlane_b32 s5, v13
	s_mov_b32 s1, exec_lo
	s_wait_kmcnt 0x0
	s_clause 0x1
	global_load_b64 v[14:15], v11, s[2:3] offset:40
	global_load_b128 v[6:9], v11, s[2:3]
	s_wait_loadcnt 0x1
	v_and_b32_e32 v16, s4, v14
	v_and_b32_e32 v17, s5, v15
	s_delay_alu instid0(VALU_DEP_1) | instskip(SKIP_1) | instid1(VALU_DEP_1)
	v_mul_u64_e32 v[12:13], 24, v[16:17]
	s_wait_loadcnt 0x0
	v_add_nc_u64_e32 v[14:15], v[6:7], v[12:13]
	s_wait_xcnt 0x0
	s_and_saveexec_b32 s6, s0
	s_cbranch_execz .LBB1_8
; %bb.7:
	v_mov_b64_e32 v[12:13], 0x100000002
	v_mov_b32_e32 v10, s1
	global_store_b128 v[14:15], v[10:13], off offset:8
.LBB1_8:
	s_wait_xcnt 0x0
	s_or_b32 exec_lo, exec_lo, s6
	v_lshlrev_b64_e32 v[10:11], 12, v[16:17]
	v_or_b32_e32 v12, 2, v0
	v_cmp_eq_u32_e32 vcc_lo, 0, v4
	s_mov_b32 s8, 0
	v_lshlrev_b32_e32 v4, 6, v5
	s_mov_b32 s9, s8
	s_mov_b32 s10, s8
	v_add_nc_u64_e32 v[8:9], v[8:9], v[10:11]
	v_cndmask_b32_e32 v0, v12, v0, vcc_lo
	s_mov_b32 s11, s8
	s_delay_alu instid0(VALU_DEP_1) | instskip(NEXT) | instid1(VALU_DEP_3)
	v_and_or_b32 v0, 0xffffff1f, v0, 32
	v_readfirstlane_b32 s6, v8
	s_delay_alu instid0(VALU_DEP_4)
	v_readfirstlane_b32 s7, v9
	v_mov_b64_e32 v[8:9], s[8:9]
	v_mov_b64_e32 v[10:11], s[10:11]
	s_clause 0x3
	global_store_b128 v4, v[0:3], s[6:7]
	global_store_b128 v4, v[8:11], s[6:7] offset:16
	global_store_b128 v4, v[8:11], s[6:7] offset:32
	global_store_b128 v4, v[8:11], s[6:7] offset:48
	s_wait_xcnt 0x0
	s_and_saveexec_b32 s1, s0
	s_cbranch_execz .LBB1_16
; %bb.9:
	v_dual_mov_b32 v8, 0 :: v_dual_mov_b32 v11, s5
	s_mov_b32 s6, exec_lo
	s_clause 0x1
	global_load_b64 v[12:13], v8, s[2:3] offset:32 scope:SCOPE_SYS
	global_load_b64 v[0:1], v8, s[2:3] offset:40
	s_wait_loadcnt 0x0
	v_dual_mov_b32 v10, s4 :: v_dual_bitop2_b32 v1, s5, v1 bitop3:0x40
	v_and_b32_e32 v0, s4, v0
	s_delay_alu instid0(VALU_DEP_1) | instskip(NEXT) | instid1(VALU_DEP_1)
	v_mul_u64_e32 v[0:1], 24, v[0:1]
	v_add_nc_u64_e32 v[4:5], v[6:7], v[0:1]
	global_store_b64 v[4:5], v[12:13], off
	global_wb scope:SCOPE_SYS
	s_wait_storecnt 0x0
	s_wait_xcnt 0x0
	global_atomic_cmpswap_b64 v[2:3], v8, v[10:13], s[2:3] offset:32 th:TH_ATOMIC_RETURN scope:SCOPE_SYS
	s_wait_loadcnt 0x0
	v_cmpx_ne_u64_e64 v[2:3], v[12:13]
	s_cbranch_execz .LBB1_12
; %bb.10:
	s_mov_b32 s7, 0
.LBB1_11:                               ; =>This Inner Loop Header: Depth=1
	v_dual_mov_b32 v0, s4 :: v_dual_mov_b32 v1, s5
	s_sleep 1
	global_store_b64 v[4:5], v[2:3], off
	global_wb scope:SCOPE_SYS
	s_wait_storecnt 0x0
	s_wait_xcnt 0x0
	global_atomic_cmpswap_b64 v[0:1], v8, v[0:3], s[2:3] offset:32 th:TH_ATOMIC_RETURN scope:SCOPE_SYS
	s_wait_loadcnt 0x0
	v_cmp_eq_u64_e32 vcc_lo, v[0:1], v[2:3]
	v_mov_b64_e32 v[2:3], v[0:1]
	s_or_b32 s7, vcc_lo, s7
	s_delay_alu instid0(SALU_CYCLE_1)
	s_and_not1_b32 exec_lo, exec_lo, s7
	s_cbranch_execnz .LBB1_11
.LBB1_12:
	s_or_b32 exec_lo, exec_lo, s6
	v_mov_b32_e32 v3, 0
	s_mov_b32 s7, exec_lo
	s_mov_b32 s6, exec_lo
	v_mbcnt_lo_u32_b32 v2, s7, 0
	global_load_b64 v[0:1], v3, s[2:3] offset:16
	s_wait_xcnt 0x0
	v_cmpx_eq_u32_e32 0, v2
	s_cbranch_execz .LBB1_14
; %bb.13:
	s_bcnt1_i32_b32 s7, s7
	s_delay_alu instid0(SALU_CYCLE_1)
	v_mov_b32_e32 v2, s7
	global_wb scope:SCOPE_SYS
	s_wait_loadcnt 0x0
	s_wait_storecnt 0x0
	global_atomic_add_u64 v[0:1], v[2:3], off offset:8 scope:SCOPE_SYS
.LBB1_14:
	s_wait_xcnt 0x0
	s_or_b32 exec_lo, exec_lo, s6
	s_wait_loadcnt 0x0
	global_load_b64 v[2:3], v[0:1], off offset:16
	s_wait_loadcnt 0x0
	v_cmp_eq_u64_e32 vcc_lo, 0, v[2:3]
	s_cbranch_vccnz .LBB1_16
; %bb.15:
	global_load_b32 v0, v[0:1], off offset:24
	s_wait_xcnt 0x0
	v_mov_b32_e32 v1, 0
	s_wait_loadcnt 0x0
	v_readfirstlane_b32 s6, v0
	global_wb scope:SCOPE_SYS
	s_wait_storecnt 0x0
	global_store_b64 v[2:3], v[0:1], off scope:SCOPE_SYS
	s_and_b32 m0, s6, 0xffffff
	s_sendmsg sendmsg(MSG_INTERRUPT)
.LBB1_16:
	s_wait_xcnt 0x0
	s_or_b32 exec_lo, exec_lo, s1
	s_branch .LBB1_20
.LBB1_17:                               ;   in Loop: Header=BB1_20 Depth=1
	s_wait_xcnt 0x0
	s_or_b32 exec_lo, exec_lo, s1
	s_delay_alu instid0(VALU_DEP_1)
	v_readfirstlane_b32 s1, v0
	s_cmp_eq_u32 s1, 0
	s_cbranch_scc1 .LBB1_19
; %bb.18:                               ;   in Loop: Header=BB1_20 Depth=1
	s_sleep 1
	s_cbranch_execnz .LBB1_20
	s_branch .LBB1_22
.LBB1_19:
	s_branch .LBB1_22
.LBB1_20:                               ; =>This Inner Loop Header: Depth=1
	v_mov_b32_e32 v0, 1
	s_and_saveexec_b32 s1, s0
	s_cbranch_execz .LBB1_17
; %bb.21:                               ;   in Loop: Header=BB1_20 Depth=1
	global_load_b32 v0, v[14:15], off offset:20 scope:SCOPE_SYS
	s_wait_loadcnt 0x0
	global_inv scope:SCOPE_SYS
	v_and_b32_e32 v0, 1, v0
	s_branch .LBB1_17
.LBB1_22:
	s_and_saveexec_b32 s6, s0
	s_cbranch_execz .LBB1_26
; %bb.23:
	v_mov_b32_e32 v6, 0
	s_clause 0x2
	global_load_b64 v[0:1], v6, s[2:3] offset:40
	global_load_b64 v[10:11], v6, s[2:3] offset:24 scope:SCOPE_SYS
	global_load_b64 v[2:3], v6, s[2:3]
	s_wait_loadcnt 0x2
	v_readfirstlane_b32 s8, v0
	v_readfirstlane_b32 s9, v1
	s_add_nc_u64 s[0:1], s[8:9], 1
	s_delay_alu instid0(SALU_CYCLE_1) | instskip(NEXT) | instid1(SALU_CYCLE_1)
	s_add_nc_u64 s[4:5], s[0:1], s[4:5]
	s_cmp_eq_u64 s[4:5], 0
	s_cselect_b32 s1, s1, s5
	s_cselect_b32 s0, s0, s4
	v_mov_b32_e32 v9, s1
	s_and_b64 s[4:5], s[0:1], s[8:9]
	v_mov_b32_e32 v8, s0
	s_mul_u64 s[4:5], s[4:5], 24
	s_wait_loadcnt 0x0
	v_add_nc_u64_e32 v[4:5], s[4:5], v[2:3]
	global_store_b64 v[4:5], v[10:11], off
	global_wb scope:SCOPE_SYS
	s_wait_storecnt 0x0
	s_wait_xcnt 0x0
	global_atomic_cmpswap_b64 v[2:3], v6, v[8:11], s[2:3] offset:24 th:TH_ATOMIC_RETURN scope:SCOPE_SYS
	s_wait_loadcnt 0x0
	v_cmp_ne_u64_e32 vcc_lo, v[2:3], v[10:11]
	s_and_b32 exec_lo, exec_lo, vcc_lo
	s_cbranch_execz .LBB1_26
; %bb.24:
	s_mov_b32 s4, 0
.LBB1_25:                               ; =>This Inner Loop Header: Depth=1
	v_dual_mov_b32 v0, s0 :: v_dual_mov_b32 v1, s1
	s_sleep 1
	global_store_b64 v[4:5], v[2:3], off
	global_wb scope:SCOPE_SYS
	s_wait_storecnt 0x0
	s_wait_xcnt 0x0
	global_atomic_cmpswap_b64 v[0:1], v6, v[0:3], s[2:3] offset:24 th:TH_ATOMIC_RETURN scope:SCOPE_SYS
	s_wait_loadcnt 0x0
	v_cmp_eq_u64_e32 vcc_lo, v[0:1], v[2:3]
	v_mov_b64_e32 v[2:3], v[0:1]
	s_or_b32 s4, vcc_lo, s4
	s_delay_alu instid0(SALU_CYCLE_1)
	s_and_not1_b32 exec_lo, exec_lo, s4
	s_cbranch_execnz .LBB1_25
.LBB1_26:
	s_or_b32 exec_lo, exec_lo, s6
	s_wait_loadcnt 0x0
	s_wait_kmcnt 0x0
	s_set_pc_i64 s[30:31]
.Lfunc_end1:
	.size	__ockl_printf_append_args, .Lfunc_end1-__ockl_printf_append_args
                                        ; -- End function
	.set .L__ockl_printf_append_args.num_vgpr, 18
	.set .L__ockl_printf_append_args.num_agpr, 0
	.set .L__ockl_printf_append_args.numbered_sgpr, 32
	.set .L__ockl_printf_append_args.num_named_barrier, 0
	.set .L__ockl_printf_append_args.private_seg_size, 0
	.set .L__ockl_printf_append_args.uses_vcc, 1
	.set .L__ockl_printf_append_args.uses_flat_scratch, 0
	.set .L__ockl_printf_append_args.has_dyn_sized_stack, 0
	.set .L__ockl_printf_append_args.has_recursion, 0
	.set .L__ockl_printf_append_args.has_indirect_call, 0
	.section	.AMDGPU.csdata,"",@progbits
; Function info:
; codeLenInByte = 1436
; TotalNumSgprs: 34
; NumVgprs: 18
; ScratchSize: 0
; MemoryBound: 0
	.text
	.p2align	2                               ; -- Begin function _ZL14no_device_codePKciS0_iS0_
	.type	_ZL14no_device_codePKciS0_iS0_,@function
_ZL14no_device_codePKciS0_iS0_:         ; @_ZL14no_device_codePKciS0_iS0_
; %bb.0:
	s_wait_loadcnt_dscnt 0x0
	s_wait_kmcnt 0x0
	s_mov_b32 s20, s33
	s_mov_b32 s33, s32
	s_xor_saveexec_b32 s0, -1
	scratch_store_b32 off, v31, s33         ; 4-byte Folded Spill
	s_wait_xcnt 0x0
	s_mov_b32 exec_lo, s0
	v_writelane_b32 v31, s30, 0
	s_add_co_i32 s32, s32, 16
	v_writelane_b32 v31, s31, 1
	s_load_b64 s[2:3], s[8:9], 0x50
	v_mbcnt_lo_u32_b32 v1, -1, 0
	v_mov_b64_e32 v[4:5], 0
	s_delay_alu instid0(VALU_DEP_2) | instskip(NEXT) | instid1(VALU_DEP_1)
	v_readfirstlane_b32 s0, v1
	v_cmp_eq_u32_e64 s0, s0, v1
	s_and_saveexec_b32 s1, s0
	s_cbranch_execz .LBB2_6
; %bb.1:
	v_mov_b32_e32 v2, 0
	s_mov_b32 s4, exec_lo
	s_wait_kmcnt 0x0
	global_load_b64 v[6:7], v2, s[2:3] offset:24 scope:SCOPE_SYS
	s_wait_loadcnt 0x0
	global_inv scope:SCOPE_SYS
	s_clause 0x1
	global_load_b64 v[4:5], v2, s[2:3] offset:40
	global_load_b64 v[8:9], v2, s[2:3]
	s_wait_loadcnt 0x1
	v_and_b32_e32 v4, v4, v6
	v_and_b32_e32 v5, v5, v7
	s_delay_alu instid0(VALU_DEP_1) | instskip(SKIP_1) | instid1(VALU_DEP_1)
	v_mul_u64_e32 v[4:5], 24, v[4:5]
	s_wait_loadcnt 0x0
	v_add_nc_u64_e32 v[4:5], v[8:9], v[4:5]
	global_load_b64 v[4:5], v[4:5], off scope:SCOPE_SYS
	s_wait_xcnt 0x0
	s_wait_loadcnt 0x0
	global_atomic_cmpswap_b64 v[4:5], v2, v[4:7], s[2:3] offset:24 th:TH_ATOMIC_RETURN scope:SCOPE_SYS
	s_wait_loadcnt 0x0
	global_inv scope:SCOPE_SYS
	s_wait_xcnt 0x0
	v_cmpx_ne_u64_e64 v[4:5], v[6:7]
	s_cbranch_execz .LBB2_5
; %bb.2:
	s_mov_b32 s5, 0
.LBB2_3:                                ; =>This Inner Loop Header: Depth=1
	s_sleep 1
	s_clause 0x1
	global_load_b64 v[8:9], v2, s[2:3] offset:40
	global_load_b64 v[10:11], v2, s[2:3]
	v_mov_b64_e32 v[6:7], v[4:5]
	s_wait_loadcnt 0x1
	s_delay_alu instid0(VALU_DEP_1) | instskip(SKIP_1) | instid1(VALU_DEP_1)
	v_and_b32_e32 v3, v8, v6
	s_wait_loadcnt 0x0
	v_mad_nc_u64_u32 v[4:5], v3, 24, v[10:11]
	s_delay_alu instid0(VALU_DEP_3) | instskip(NEXT) | instid1(VALU_DEP_1)
	v_and_b32_e32 v3, v9, v7
	v_mad_u32 v5, v3, 24, v5
	global_load_b64 v[4:5], v[4:5], off scope:SCOPE_SYS
	s_wait_xcnt 0x0
	s_wait_loadcnt 0x0
	global_atomic_cmpswap_b64 v[4:5], v2, v[4:7], s[2:3] offset:24 th:TH_ATOMIC_RETURN scope:SCOPE_SYS
	s_wait_loadcnt 0x0
	global_inv scope:SCOPE_SYS
	v_cmp_eq_u64_e32 vcc_lo, v[4:5], v[6:7]
	s_or_b32 s5, vcc_lo, s5
	s_wait_xcnt 0x0
	s_and_not1_b32 exec_lo, exec_lo, s5
	s_cbranch_execnz .LBB2_3
; %bb.4:
	s_or_b32 exec_lo, exec_lo, s5
.LBB2_5:
	s_delay_alu instid0(SALU_CYCLE_1)
	s_or_b32 exec_lo, exec_lo, s4
.LBB2_6:
	s_delay_alu instid0(SALU_CYCLE_1)
	s_or_b32 exec_lo, exec_lo, s1
	v_readfirstlane_b32 s4, v4
	v_mov_b32_e32 v3, 0
	v_readfirstlane_b32 s5, v5
	s_mov_b32 s1, exec_lo
	s_wait_kmcnt 0x0
	s_clause 0x1
	global_load_b64 v[10:11], v3, s[2:3] offset:40
	global_load_b128 v[6:9], v3, s[2:3]
	s_wait_loadcnt 0x1
	v_and_b32_e32 v12, s4, v10
	v_and_b32_e32 v13, s5, v11
	s_delay_alu instid0(VALU_DEP_1) | instskip(SKIP_1) | instid1(VALU_DEP_1)
	v_mul_u64_e32 v[4:5], 24, v[12:13]
	s_wait_loadcnt 0x0
	v_add_nc_u64_e32 v[10:11], v[6:7], v[4:5]
	s_wait_xcnt 0x0
	s_and_saveexec_b32 s6, s0
	s_cbranch_execz .LBB2_8
; %bb.7:
	v_mov_b64_e32 v[4:5], 0x100000002
	v_mov_b32_e32 v2, s1
	global_store_b128 v[10:11], v[2:5], off offset:8
.LBB2_8:
	s_wait_xcnt 0x0
	s_or_b32 exec_lo, exec_lo, s6
	v_lshlrev_b64_e32 v[4:5], 12, v[12:13]
	s_mov_b32 s12, 0
	v_dual_lshlrev_b32 v2, 6, v1 :: v_dual_mov_b32 v12, 33
	s_mov_b32 s14, s12
	s_mov_b32 s15, s12
	;; [unrolled: 1-line block ×3, first 2 shown]
	s_delay_alu instid0(VALU_DEP_2)
	v_add_nc_u64_e32 v[8:9], v[8:9], v[4:5]
	v_mov_b64_e32 v[18:19], s[14:15]
	v_mov_b64_e32 v[16:17], s[12:13]
	v_dual_mov_b32 v13, v3 :: v_dual_mov_b32 v14, v3
	v_mov_b32_e32 v15, v3
	v_readfirstlane_b32 s6, v8
	v_readfirstlane_b32 s7, v9
	s_clause 0x3
	global_store_b128 v2, v[12:15], s[6:7]
	global_store_b128 v2, v[16:19], s[6:7] offset:16
	global_store_b128 v2, v[16:19], s[6:7] offset:32
	;; [unrolled: 1-line block ×3, first 2 shown]
	s_wait_xcnt 0x0
	s_and_saveexec_b32 s1, s0
	s_cbranch_execz .LBB2_16
; %bb.9:
	v_dual_mov_b32 v14, 0 :: v_dual_mov_b32 v17, s5
	s_mov_b32 s6, exec_lo
	s_clause 0x1
	global_load_b64 v[18:19], v14, s[2:3] offset:32 scope:SCOPE_SYS
	global_load_b64 v[4:5], v14, s[2:3] offset:40
	s_wait_loadcnt 0x0
	v_dual_mov_b32 v16, s4 :: v_dual_bitop2_b32 v5, s5, v5 bitop3:0x40
	v_and_b32_e32 v4, s4, v4
	s_delay_alu instid0(VALU_DEP_1) | instskip(NEXT) | instid1(VALU_DEP_1)
	v_mul_u64_e32 v[4:5], 24, v[4:5]
	v_add_nc_u64_e32 v[12:13], v[6:7], v[4:5]
	global_store_b64 v[12:13], v[18:19], off
	global_wb scope:SCOPE_SYS
	s_wait_storecnt 0x0
	s_wait_xcnt 0x0
	global_atomic_cmpswap_b64 v[6:7], v14, v[16:19], s[2:3] offset:32 th:TH_ATOMIC_RETURN scope:SCOPE_SYS
	s_wait_loadcnt 0x0
	v_cmpx_ne_u64_e64 v[6:7], v[18:19]
	s_cbranch_execz .LBB2_12
; %bb.10:
	s_mov_b32 s7, 0
.LBB2_11:                               ; =>This Inner Loop Header: Depth=1
	v_dual_mov_b32 v4, s4 :: v_dual_mov_b32 v5, s5
	s_sleep 1
	global_store_b64 v[12:13], v[6:7], off
	global_wb scope:SCOPE_SYS
	s_wait_storecnt 0x0
	s_wait_xcnt 0x0
	global_atomic_cmpswap_b64 v[4:5], v14, v[4:7], s[2:3] offset:32 th:TH_ATOMIC_RETURN scope:SCOPE_SYS
	s_wait_loadcnt 0x0
	v_cmp_eq_u64_e32 vcc_lo, v[4:5], v[6:7]
	v_mov_b64_e32 v[6:7], v[4:5]
	s_or_b32 s7, vcc_lo, s7
	s_delay_alu instid0(SALU_CYCLE_1)
	s_and_not1_b32 exec_lo, exec_lo, s7
	s_cbranch_execnz .LBB2_11
.LBB2_12:
	s_or_b32 exec_lo, exec_lo, s6
	v_mov_b32_e32 v7, 0
	s_mov_b32 s7, exec_lo
	s_mov_b32 s6, exec_lo
	v_mbcnt_lo_u32_b32 v6, s7, 0
	global_load_b64 v[4:5], v7, s[2:3] offset:16
	s_wait_xcnt 0x0
	v_cmpx_eq_u32_e32 0, v6
	s_cbranch_execz .LBB2_14
; %bb.13:
	s_bcnt1_i32_b32 s7, s7
	s_delay_alu instid0(SALU_CYCLE_1)
	v_mov_b32_e32 v6, s7
	global_wb scope:SCOPE_SYS
	s_wait_loadcnt 0x0
	s_wait_storecnt 0x0
	global_atomic_add_u64 v[4:5], v[6:7], off offset:8 scope:SCOPE_SYS
.LBB2_14:
	s_wait_xcnt 0x0
	s_or_b32 exec_lo, exec_lo, s6
	s_wait_loadcnt 0x0
	global_load_b64 v[6:7], v[4:5], off offset:16
	s_wait_loadcnt 0x0
	v_cmp_eq_u64_e32 vcc_lo, 0, v[6:7]
	s_cbranch_vccnz .LBB2_16
; %bb.15:
	global_load_b32 v4, v[4:5], off offset:24
	s_wait_xcnt 0x0
	v_mov_b32_e32 v5, 0
	s_wait_loadcnt 0x0
	v_readfirstlane_b32 s6, v4
	global_wb scope:SCOPE_SYS
	s_wait_storecnt 0x0
	global_store_b64 v[6:7], v[4:5], off scope:SCOPE_SYS
	s_and_b32 m0, s6, 0xffffff
	s_sendmsg sendmsg(MSG_INTERRUPT)
.LBB2_16:
	s_wait_xcnt 0x0
	s_or_b32 exec_lo, exec_lo, s1
	v_add_nc_u64_e32 v[4:5], v[8:9], v[2:3]
	s_branch .LBB2_20
.LBB2_17:                               ;   in Loop: Header=BB2_20 Depth=1
	s_wait_xcnt 0x0
	s_or_b32 exec_lo, exec_lo, s1
	s_delay_alu instid0(VALU_DEP_1)
	v_readfirstlane_b32 s1, v3
	s_cmp_eq_u32 s1, 0
	s_cbranch_scc1 .LBB2_19
; %bb.18:                               ;   in Loop: Header=BB2_20 Depth=1
	s_sleep 1
	s_cbranch_execnz .LBB2_20
	s_branch .LBB2_22
.LBB2_19:
	s_branch .LBB2_22
.LBB2_20:                               ; =>This Inner Loop Header: Depth=1
	v_mov_b32_e32 v3, 1
	s_and_saveexec_b32 s1, s0
	s_cbranch_execz .LBB2_17
; %bb.21:                               ;   in Loop: Header=BB2_20 Depth=1
	global_load_b32 v3, v[10:11], off offset:20 scope:SCOPE_SYS
	s_wait_loadcnt 0x0
	global_inv scope:SCOPE_SYS
	v_and_b32_e32 v3, 1, v3
	s_branch .LBB2_17
.LBB2_22:
	global_load_b64 v[8:9], v[4:5], off
	s_wait_xcnt 0x0
	s_and_saveexec_b32 s6, s0
	s_cbranch_execz .LBB2_26
; %bb.23:
	v_mov_b32_e32 v3, 0
	s_clause 0x2
	global_load_b64 v[4:5], v3, s[2:3] offset:40
	global_load_b64 v[14:15], v3, s[2:3] offset:24 scope:SCOPE_SYS
	global_load_b64 v[6:7], v3, s[2:3]
	s_wait_loadcnt 0x2
	v_readfirstlane_b32 s10, v4
	v_readfirstlane_b32 s11, v5
	s_add_nc_u64 s[0:1], s[10:11], 1
	s_delay_alu instid0(SALU_CYCLE_1) | instskip(NEXT) | instid1(SALU_CYCLE_1)
	s_add_nc_u64 s[4:5], s[0:1], s[4:5]
	s_cmp_eq_u64 s[4:5], 0
	s_cselect_b32 s1, s1, s5
	s_cselect_b32 s0, s0, s4
	v_mov_b32_e32 v13, s1
	s_and_b64 s[4:5], s[0:1], s[10:11]
	v_mov_b32_e32 v12, s0
	s_mul_u64 s[4:5], s[4:5], 24
	s_wait_loadcnt 0x0
	v_add_nc_u64_e32 v[10:11], s[4:5], v[6:7]
	global_store_b64 v[10:11], v[14:15], off
	global_wb scope:SCOPE_SYS
	s_wait_storecnt 0x0
	s_wait_xcnt 0x0
	global_atomic_cmpswap_b64 v[6:7], v3, v[12:15], s[2:3] offset:24 th:TH_ATOMIC_RETURN scope:SCOPE_SYS
	s_wait_loadcnt 0x0
	v_cmp_ne_u64_e32 vcc_lo, v[6:7], v[14:15]
	s_and_b32 exec_lo, exec_lo, vcc_lo
	s_cbranch_execz .LBB2_26
; %bb.24:
	s_mov_b32 s4, 0
.LBB2_25:                               ; =>This Inner Loop Header: Depth=1
	v_dual_mov_b32 v4, s0 :: v_dual_mov_b32 v5, s1
	s_sleep 1
	global_store_b64 v[10:11], v[6:7], off
	global_wb scope:SCOPE_SYS
	s_wait_storecnt 0x0
	s_wait_xcnt 0x0
	global_atomic_cmpswap_b64 v[4:5], v3, v[4:7], s[2:3] offset:24 th:TH_ATOMIC_RETURN scope:SCOPE_SYS
	s_wait_loadcnt 0x0
	v_cmp_eq_u64_e32 vcc_lo, v[4:5], v[6:7]
	v_mov_b64_e32 v[6:7], v[4:5]
	s_or_b32 s4, vcc_lo, s4
	s_delay_alu instid0(SALU_CYCLE_1)
	s_and_not1_b32 exec_lo, exec_lo, s4
	s_cbranch_execnz .LBB2_25
.LBB2_26:
	s_or_b32 exec_lo, exec_lo, s6
	s_get_pc_i64 s[4:5]
	s_add_nc_u64 s[4:5], s[4:5], .str.2@rel64+4
	s_delay_alu instid0(SALU_CYCLE_1)
	s_cmp_lg_u64 s[4:5], 0
	s_cbranch_scc0 .LBB2_104
; %bb.27:
	v_mov_b64_e32 v[12:13], 0x100000002
	s_wait_loadcnt 0x0
	v_dual_mov_b32 v11, 0 :: v_dual_bitop2_b32 v30, 2, v8 bitop3:0x40
	v_dual_mov_b32 v5, v9 :: v_dual_bitop2_b32 v4, -3, v8 bitop3:0x40
	s_mov_b64 s[6:7], 0x4d
	s_branch .LBB2_29
.LBB2_28:                               ;   in Loop: Header=BB2_29 Depth=1
	s_or_b32 exec_lo, exec_lo, s14
	s_sub_nc_u64 s[6:7], s[6:7], s[10:11]
	s_add_nc_u64 s[4:5], s[4:5], s[10:11]
	s_cmp_lg_u64 s[6:7], 0
	s_cbranch_scc0 .LBB2_105
.LBB2_29:                               ; =>This Loop Header: Depth=1
                                        ;     Child Loop BB2_32 Depth 2
                                        ;     Child Loop BB2_39 Depth 2
                                        ;     Child Loop BB2_46 Depth 2
                                        ;     Child Loop BB2_53 Depth 2
                                        ;     Child Loop BB2_60 Depth 2
                                        ;     Child Loop BB2_67 Depth 2
                                        ;     Child Loop BB2_74 Depth 2
                                        ;     Child Loop BB2_81 Depth 2
                                        ;     Child Loop BB2_89 Depth 2
                                        ;     Child Loop BB2_98 Depth 2
                                        ;     Child Loop BB2_103 Depth 2
	v_min_u64 v[6:7], s[6:7], 56
	v_cmp_gt_u64_e64 s0, s[6:7], 7
	s_and_b32 vcc_lo, exec_lo, s0
	v_readfirstlane_b32 s10, v6
	v_readfirstlane_b32 s11, v7
	s_cbranch_vccnz .LBB2_34
; %bb.30:                               ;   in Loop: Header=BB2_29 Depth=1
	v_mov_b64_e32 v[6:7], 0
	s_cmp_eq_u64 s[6:7], 0
	s_cbranch_scc1 .LBB2_33
; %bb.31:                               ;   in Loop: Header=BB2_29 Depth=1
	s_mov_b64 s[0:1], 0
	s_mov_b64 s[12:13], 0
.LBB2_32:                               ;   Parent Loop BB2_29 Depth=1
                                        ; =>  This Inner Loop Header: Depth=2
	s_wait_xcnt 0x0
	s_add_nc_u64 s[14:15], s[4:5], s[12:13]
	s_add_nc_u64 s[12:13], s[12:13], 1
	global_load_u8 v3, v11, s[14:15]
	s_cmp_lg_u32 s10, s12
	s_wait_loadcnt 0x0
	v_and_b32_e32 v10, 0xffff, v3
	s_delay_alu instid0(VALU_DEP_1) | instskip(SKIP_1) | instid1(VALU_DEP_1)
	v_lshlrev_b64_e32 v[14:15], s0, v[10:11]
	s_add_nc_u64 s[0:1], s[0:1], 8
	v_or_b32_e32 v6, v14, v6
	s_delay_alu instid0(VALU_DEP_2)
	v_or_b32_e32 v7, v15, v7
	s_cbranch_scc1 .LBB2_32
.LBB2_33:                               ;   in Loop: Header=BB2_29 Depth=1
	s_mov_b64 s[12:13], s[4:5]
	s_mov_b32 s16, 0
	s_cbranch_execz .LBB2_35
	s_branch .LBB2_36
.LBB2_34:                               ;   in Loop: Header=BB2_29 Depth=1
	s_add_nc_u64 s[12:13], s[4:5], 8
	s_mov_b32 s16, 0
.LBB2_35:                               ;   in Loop: Header=BB2_29 Depth=1
	global_load_b64 v[6:7], v11, s[4:5]
	s_add_co_i32 s16, s10, -8
.LBB2_36:                               ;   in Loop: Header=BB2_29 Depth=1
	s_delay_alu instid0(SALU_CYCLE_1)
	s_cmp_gt_u32 s16, 7
	s_cbranch_scc1 .LBB2_41
; %bb.37:                               ;   in Loop: Header=BB2_29 Depth=1
	v_mov_b64_e32 v[14:15], 0
	s_cmp_eq_u32 s16, 0
	s_cbranch_scc1 .LBB2_40
; %bb.38:                               ;   in Loop: Header=BB2_29 Depth=1
	s_mov_b64 s[0:1], 0
	s_wait_xcnt 0x0
	s_mov_b64 s[14:15], 0
.LBB2_39:                               ;   Parent Loop BB2_29 Depth=1
                                        ; =>  This Inner Loop Header: Depth=2
	s_wait_xcnt 0x0
	s_add_nc_u64 s[18:19], s[12:13], s[14:15]
	s_add_nc_u64 s[14:15], s[14:15], 1
	global_load_u8 v3, v11, s[18:19]
	s_cmp_lg_u32 s16, s14
	s_wait_loadcnt 0x0
	v_and_b32_e32 v10, 0xffff, v3
	s_delay_alu instid0(VALU_DEP_1) | instskip(SKIP_1) | instid1(VALU_DEP_1)
	v_lshlrev_b64_e32 v[16:17], s0, v[10:11]
	s_add_nc_u64 s[0:1], s[0:1], 8
	v_or_b32_e32 v14, v16, v14
	s_delay_alu instid0(VALU_DEP_2)
	v_or_b32_e32 v15, v17, v15
	s_cbranch_scc1 .LBB2_39
.LBB2_40:                               ;   in Loop: Header=BB2_29 Depth=1
	s_wait_xcnt 0x0
	s_mov_b64 s[0:1], s[12:13]
	s_mov_b32 s17, 0
	s_cbranch_execz .LBB2_42
	s_branch .LBB2_43
.LBB2_41:                               ;   in Loop: Header=BB2_29 Depth=1
	s_add_nc_u64 s[0:1], s[12:13], 8
	s_wait_xcnt 0x0
                                        ; implicit-def: $vgpr14_vgpr15
	s_mov_b32 s17, 0
.LBB2_42:                               ;   in Loop: Header=BB2_29 Depth=1
	global_load_b64 v[14:15], v11, s[12:13]
	s_add_co_i32 s17, s16, -8
.LBB2_43:                               ;   in Loop: Header=BB2_29 Depth=1
	s_delay_alu instid0(SALU_CYCLE_1)
	s_cmp_gt_u32 s17, 7
	s_cbranch_scc1 .LBB2_48
; %bb.44:                               ;   in Loop: Header=BB2_29 Depth=1
	v_mov_b64_e32 v[16:17], 0
	s_cmp_eq_u32 s17, 0
	s_cbranch_scc1 .LBB2_47
; %bb.45:                               ;   in Loop: Header=BB2_29 Depth=1
	s_wait_xcnt 0x0
	s_mov_b64 s[12:13], 0
	s_mov_b64 s[14:15], 0
.LBB2_46:                               ;   Parent Loop BB2_29 Depth=1
                                        ; =>  This Inner Loop Header: Depth=2
	s_wait_xcnt 0x0
	s_add_nc_u64 s[18:19], s[0:1], s[14:15]
	s_add_nc_u64 s[14:15], s[14:15], 1
	global_load_u8 v3, v11, s[18:19]
	s_cmp_lg_u32 s17, s14
	s_wait_loadcnt 0x0
	v_and_b32_e32 v10, 0xffff, v3
	s_delay_alu instid0(VALU_DEP_1) | instskip(SKIP_1) | instid1(VALU_DEP_1)
	v_lshlrev_b64_e32 v[18:19], s12, v[10:11]
	s_add_nc_u64 s[12:13], s[12:13], 8
	v_or_b32_e32 v16, v18, v16
	s_delay_alu instid0(VALU_DEP_2)
	v_or_b32_e32 v17, v19, v17
	s_cbranch_scc1 .LBB2_46
.LBB2_47:                               ;   in Loop: Header=BB2_29 Depth=1
	s_wait_xcnt 0x0
	s_mov_b64 s[12:13], s[0:1]
	s_mov_b32 s16, 0
	s_cbranch_execz .LBB2_49
	s_branch .LBB2_50
.LBB2_48:                               ;   in Loop: Header=BB2_29 Depth=1
	s_wait_xcnt 0x0
	s_add_nc_u64 s[12:13], s[0:1], 8
	s_mov_b32 s16, 0
.LBB2_49:                               ;   in Loop: Header=BB2_29 Depth=1
	global_load_b64 v[16:17], v11, s[0:1]
	s_add_co_i32 s16, s17, -8
.LBB2_50:                               ;   in Loop: Header=BB2_29 Depth=1
	s_delay_alu instid0(SALU_CYCLE_1)
	s_cmp_gt_u32 s16, 7
	s_cbranch_scc1 .LBB2_55
; %bb.51:                               ;   in Loop: Header=BB2_29 Depth=1
	v_mov_b64_e32 v[18:19], 0
	s_cmp_eq_u32 s16, 0
	s_cbranch_scc1 .LBB2_54
; %bb.52:                               ;   in Loop: Header=BB2_29 Depth=1
	s_wait_xcnt 0x0
	s_mov_b64 s[0:1], 0
	s_mov_b64 s[14:15], 0
.LBB2_53:                               ;   Parent Loop BB2_29 Depth=1
                                        ; =>  This Inner Loop Header: Depth=2
	s_wait_xcnt 0x0
	s_add_nc_u64 s[18:19], s[12:13], s[14:15]
	s_add_nc_u64 s[14:15], s[14:15], 1
	global_load_u8 v3, v11, s[18:19]
	s_cmp_lg_u32 s16, s14
	s_wait_loadcnt 0x0
	v_and_b32_e32 v10, 0xffff, v3
	s_delay_alu instid0(VALU_DEP_1) | instskip(SKIP_1) | instid1(VALU_DEP_1)
	v_lshlrev_b64_e32 v[20:21], s0, v[10:11]
	s_add_nc_u64 s[0:1], s[0:1], 8
	v_or_b32_e32 v18, v20, v18
	s_delay_alu instid0(VALU_DEP_2)
	v_or_b32_e32 v19, v21, v19
	s_cbranch_scc1 .LBB2_53
.LBB2_54:                               ;   in Loop: Header=BB2_29 Depth=1
	s_wait_xcnt 0x0
	s_mov_b64 s[0:1], s[12:13]
	s_mov_b32 s17, 0
	s_cbranch_execz .LBB2_56
	s_branch .LBB2_57
.LBB2_55:                               ;   in Loop: Header=BB2_29 Depth=1
	s_wait_xcnt 0x0
	s_add_nc_u64 s[0:1], s[12:13], 8
                                        ; implicit-def: $vgpr18_vgpr19
	s_mov_b32 s17, 0
.LBB2_56:                               ;   in Loop: Header=BB2_29 Depth=1
	global_load_b64 v[18:19], v11, s[12:13]
	s_add_co_i32 s17, s16, -8
.LBB2_57:                               ;   in Loop: Header=BB2_29 Depth=1
	s_delay_alu instid0(SALU_CYCLE_1)
	s_cmp_gt_u32 s17, 7
	s_cbranch_scc1 .LBB2_62
; %bb.58:                               ;   in Loop: Header=BB2_29 Depth=1
	v_mov_b64_e32 v[20:21], 0
	s_cmp_eq_u32 s17, 0
	s_cbranch_scc1 .LBB2_61
; %bb.59:                               ;   in Loop: Header=BB2_29 Depth=1
	s_wait_xcnt 0x0
	s_mov_b64 s[12:13], 0
	s_mov_b64 s[14:15], 0
.LBB2_60:                               ;   Parent Loop BB2_29 Depth=1
                                        ; =>  This Inner Loop Header: Depth=2
	s_wait_xcnt 0x0
	s_add_nc_u64 s[18:19], s[0:1], s[14:15]
	s_add_nc_u64 s[14:15], s[14:15], 1
	global_load_u8 v3, v11, s[18:19]
	s_cmp_lg_u32 s17, s14
	s_wait_loadcnt 0x0
	v_and_b32_e32 v10, 0xffff, v3
	s_delay_alu instid0(VALU_DEP_1) | instskip(SKIP_1) | instid1(VALU_DEP_1)
	v_lshlrev_b64_e32 v[22:23], s12, v[10:11]
	s_add_nc_u64 s[12:13], s[12:13], 8
	v_or_b32_e32 v20, v22, v20
	s_delay_alu instid0(VALU_DEP_2)
	v_or_b32_e32 v21, v23, v21
	s_cbranch_scc1 .LBB2_60
.LBB2_61:                               ;   in Loop: Header=BB2_29 Depth=1
	s_wait_xcnt 0x0
	s_mov_b64 s[12:13], s[0:1]
	s_mov_b32 s16, 0
	s_cbranch_execz .LBB2_63
	s_branch .LBB2_64
.LBB2_62:                               ;   in Loop: Header=BB2_29 Depth=1
	s_wait_xcnt 0x0
	s_add_nc_u64 s[12:13], s[0:1], 8
	s_mov_b32 s16, 0
.LBB2_63:                               ;   in Loop: Header=BB2_29 Depth=1
	global_load_b64 v[20:21], v11, s[0:1]
	s_add_co_i32 s16, s17, -8
.LBB2_64:                               ;   in Loop: Header=BB2_29 Depth=1
	s_delay_alu instid0(SALU_CYCLE_1)
	s_cmp_gt_u32 s16, 7
	s_cbranch_scc1 .LBB2_69
; %bb.65:                               ;   in Loop: Header=BB2_29 Depth=1
	v_mov_b64_e32 v[22:23], 0
	s_cmp_eq_u32 s16, 0
	s_cbranch_scc1 .LBB2_68
; %bb.66:                               ;   in Loop: Header=BB2_29 Depth=1
	s_wait_xcnt 0x0
	s_mov_b64 s[0:1], 0
	s_mov_b64 s[14:15], 0
.LBB2_67:                               ;   Parent Loop BB2_29 Depth=1
                                        ; =>  This Inner Loop Header: Depth=2
	s_wait_xcnt 0x0
	s_add_nc_u64 s[18:19], s[12:13], s[14:15]
	s_add_nc_u64 s[14:15], s[14:15], 1
	global_load_u8 v3, v11, s[18:19]
	s_cmp_lg_u32 s16, s14
	s_wait_loadcnt 0x0
	v_and_b32_e32 v10, 0xffff, v3
	s_delay_alu instid0(VALU_DEP_1) | instskip(SKIP_1) | instid1(VALU_DEP_1)
	v_lshlrev_b64_e32 v[24:25], s0, v[10:11]
	s_add_nc_u64 s[0:1], s[0:1], 8
	v_or_b32_e32 v22, v24, v22
	s_delay_alu instid0(VALU_DEP_2)
	v_or_b32_e32 v23, v25, v23
	s_cbranch_scc1 .LBB2_67
.LBB2_68:                               ;   in Loop: Header=BB2_29 Depth=1
	s_wait_xcnt 0x0
	s_mov_b64 s[0:1], s[12:13]
	s_mov_b32 s17, 0
	s_cbranch_execz .LBB2_70
	s_branch .LBB2_71
.LBB2_69:                               ;   in Loop: Header=BB2_29 Depth=1
	s_wait_xcnt 0x0
	s_add_nc_u64 s[0:1], s[12:13], 8
                                        ; implicit-def: $vgpr22_vgpr23
	s_mov_b32 s17, 0
.LBB2_70:                               ;   in Loop: Header=BB2_29 Depth=1
	global_load_b64 v[22:23], v11, s[12:13]
	s_add_co_i32 s17, s16, -8
.LBB2_71:                               ;   in Loop: Header=BB2_29 Depth=1
	s_delay_alu instid0(SALU_CYCLE_1)
	s_cmp_gt_u32 s17, 7
	s_cbranch_scc1 .LBB2_76
; %bb.72:                               ;   in Loop: Header=BB2_29 Depth=1
	v_mov_b64_e32 v[24:25], 0
	s_cmp_eq_u32 s17, 0
	s_cbranch_scc1 .LBB2_75
; %bb.73:                               ;   in Loop: Header=BB2_29 Depth=1
	s_wait_xcnt 0x0
	s_mov_b64 s[12:13], 0
	s_mov_b64 s[14:15], s[0:1]
.LBB2_74:                               ;   Parent Loop BB2_29 Depth=1
                                        ; =>  This Inner Loop Header: Depth=2
	global_load_u8 v3, v11, s[14:15]
	s_add_co_i32 s17, s17, -1
	s_wait_xcnt 0x0
	s_add_nc_u64 s[14:15], s[14:15], 1
	s_cmp_lg_u32 s17, 0
	s_wait_loadcnt 0x0
	v_and_b32_e32 v10, 0xffff, v3
	s_delay_alu instid0(VALU_DEP_1) | instskip(SKIP_1) | instid1(VALU_DEP_1)
	v_lshlrev_b64_e32 v[26:27], s12, v[10:11]
	s_add_nc_u64 s[12:13], s[12:13], 8
	v_or_b32_e32 v24, v26, v24
	s_delay_alu instid0(VALU_DEP_2)
	v_or_b32_e32 v25, v27, v25
	s_cbranch_scc1 .LBB2_74
.LBB2_75:                               ;   in Loop: Header=BB2_29 Depth=1
	s_wait_xcnt 0x0
	s_cbranch_execz .LBB2_77
	s_branch .LBB2_78
.LBB2_76:                               ;   in Loop: Header=BB2_29 Depth=1
	s_wait_xcnt 0x0
.LBB2_77:                               ;   in Loop: Header=BB2_29 Depth=1
	global_load_b64 v[24:25], v11, s[0:1]
.LBB2_78:                               ;   in Loop: Header=BB2_29 Depth=1
	s_wait_xcnt 0x0
	v_readfirstlane_b32 s0, v1
	v_mov_b64_e32 v[32:33], 0
	s_delay_alu instid0(VALU_DEP_2)
	v_cmp_eq_u32_e64 s0, s0, v1
	s_and_saveexec_b32 s1, s0
	s_cbranch_execz .LBB2_84
; %bb.79:                               ;   in Loop: Header=BB2_29 Depth=1
	global_load_b64 v[28:29], v11, s[2:3] offset:24 scope:SCOPE_SYS
	s_wait_loadcnt 0x0
	global_inv scope:SCOPE_SYS
	s_clause 0x1
	global_load_b64 v[26:27], v11, s[2:3] offset:40
	global_load_b64 v[32:33], v11, s[2:3]
	s_mov_b32 s12, exec_lo
	s_wait_loadcnt 0x1
	v_and_b32_e32 v26, v26, v28
	v_and_b32_e32 v27, v27, v29
	s_delay_alu instid0(VALU_DEP_1) | instskip(SKIP_1) | instid1(VALU_DEP_1)
	v_mul_u64_e32 v[26:27], 24, v[26:27]
	s_wait_loadcnt 0x0
	v_add_nc_u64_e32 v[26:27], v[32:33], v[26:27]
	global_load_b64 v[26:27], v[26:27], off scope:SCOPE_SYS
	s_wait_xcnt 0x0
	s_wait_loadcnt 0x0
	global_atomic_cmpswap_b64 v[32:33], v11, v[26:29], s[2:3] offset:24 th:TH_ATOMIC_RETURN scope:SCOPE_SYS
	s_wait_loadcnt 0x0
	global_inv scope:SCOPE_SYS
	s_wait_xcnt 0x0
	v_cmpx_ne_u64_e64 v[32:33], v[28:29]
	s_cbranch_execz .LBB2_83
; %bb.80:                               ;   in Loop: Header=BB2_29 Depth=1
	s_mov_b32 s13, 0
.LBB2_81:                               ;   Parent Loop BB2_29 Depth=1
                                        ; =>  This Inner Loop Header: Depth=2
	s_sleep 1
	s_clause 0x1
	global_load_b64 v[26:27], v11, s[2:3] offset:40
	global_load_b64 v[34:35], v11, s[2:3]
	v_mov_b64_e32 v[28:29], v[32:33]
	s_wait_loadcnt 0x1
	s_delay_alu instid0(VALU_DEP_1) | instskip(SKIP_1) | instid1(VALU_DEP_1)
	v_and_b32_e32 v3, v26, v28
	s_wait_loadcnt 0x0
	v_mad_nc_u64_u32 v[32:33], v3, 24, v[34:35]
	s_delay_alu instid0(VALU_DEP_3) | instskip(NEXT) | instid1(VALU_DEP_1)
	v_and_b32_e32 v3, v27, v29
	v_mad_u32 v33, v3, 24, v33
	global_load_b64 v[26:27], v[32:33], off scope:SCOPE_SYS
	s_wait_xcnt 0x0
	s_wait_loadcnt 0x0
	global_atomic_cmpswap_b64 v[32:33], v11, v[26:29], s[2:3] offset:24 th:TH_ATOMIC_RETURN scope:SCOPE_SYS
	s_wait_loadcnt 0x0
	global_inv scope:SCOPE_SYS
	v_cmp_eq_u64_e32 vcc_lo, v[32:33], v[28:29]
	s_or_b32 s13, vcc_lo, s13
	s_wait_xcnt 0x0
	s_and_not1_b32 exec_lo, exec_lo, s13
	s_cbranch_execnz .LBB2_81
; %bb.82:                               ;   in Loop: Header=BB2_29 Depth=1
	s_or_b32 exec_lo, exec_lo, s13
.LBB2_83:                               ;   in Loop: Header=BB2_29 Depth=1
	s_delay_alu instid0(SALU_CYCLE_1)
	s_or_b32 exec_lo, exec_lo, s12
.LBB2_84:                               ;   in Loop: Header=BB2_29 Depth=1
	s_delay_alu instid0(SALU_CYCLE_1)
	s_or_b32 exec_lo, exec_lo, s1
	s_clause 0x1
	global_load_b64 v[34:35], v11, s[2:3] offset:40
	global_load_b128 v[26:29], v11, s[2:3]
	v_readfirstlane_b32 s12, v32
	v_readfirstlane_b32 s13, v33
	s_mov_b32 s1, exec_lo
	s_wait_loadcnt 0x1
	v_and_b32_e32 v34, s12, v34
	v_and_b32_e32 v35, s13, v35
	s_delay_alu instid0(VALU_DEP_1) | instskip(SKIP_1) | instid1(VALU_DEP_1)
	v_mul_u64_e32 v[32:33], 24, v[34:35]
	s_wait_loadcnt 0x0
	v_add_nc_u64_e32 v[32:33], v[26:27], v[32:33]
	s_wait_xcnt 0x0
	s_and_saveexec_b32 s14, s0
	s_cbranch_execz .LBB2_86
; %bb.85:                               ;   in Loop: Header=BB2_29 Depth=1
	v_mov_b32_e32 v10, s1
	global_store_b128 v[32:33], v[10:13], off offset:8
.LBB2_86:                               ;   in Loop: Header=BB2_29 Depth=1
	s_wait_xcnt 0x0
	s_or_b32 exec_lo, exec_lo, s14
	v_cmp_lt_u64_e64 vcc_lo, s[6:7], 57
	v_lshlrev_b64_e32 v[34:35], 12, v[34:35]
	v_and_b32_e32 v4, 0xffffff1f, v4
	s_lshl_b32 s1, s10, 2
	s_delay_alu instid0(SALU_CYCLE_1) | instskip(SKIP_1) | instid1(VALU_DEP_3)
	s_add_co_i32 s1, s1, 28
	v_cndmask_b32_e32 v3, 0, v30, vcc_lo
	v_add_nc_u64_e32 v[28:29], v[28:29], v[34:35]
	s_delay_alu instid0(VALU_DEP_2) | instskip(NEXT) | instid1(VALU_DEP_2)
	v_or_b32_e32 v3, v4, v3
	v_readfirstlane_b32 s14, v28
	s_delay_alu instid0(VALU_DEP_3) | instskip(NEXT) | instid1(VALU_DEP_3)
	v_readfirstlane_b32 s15, v29
	v_and_or_b32 v4, 0x1e0, s1, v3
	s_clause 0x3
	global_store_b128 v2, v[4:7], s[14:15]
	global_store_b128 v2, v[14:17], s[14:15] offset:16
	global_store_b128 v2, v[18:21], s[14:15] offset:32
	;; [unrolled: 1-line block ×3, first 2 shown]
	s_wait_xcnt 0x0
	s_and_saveexec_b32 s1, s0
	s_cbranch_execz .LBB2_94
; %bb.87:                               ;   in Loop: Header=BB2_29 Depth=1
	s_clause 0x1
	global_load_b64 v[18:19], v11, s[2:3] offset:32 scope:SCOPE_SYS
	global_load_b64 v[4:5], v11, s[2:3] offset:40
	s_mov_b32 s14, exec_lo
	v_dual_mov_b32 v16, s12 :: v_dual_mov_b32 v17, s13
	s_wait_loadcnt 0x0
	v_and_b32_e32 v5, s13, v5
	v_and_b32_e32 v4, s12, v4
	s_delay_alu instid0(VALU_DEP_1) | instskip(NEXT) | instid1(VALU_DEP_1)
	v_mul_u64_e32 v[4:5], 24, v[4:5]
	v_add_nc_u64_e32 v[14:15], v[26:27], v[4:5]
	global_store_b64 v[14:15], v[18:19], off
	global_wb scope:SCOPE_SYS
	s_wait_storecnt 0x0
	s_wait_xcnt 0x0
	global_atomic_cmpswap_b64 v[6:7], v11, v[16:19], s[2:3] offset:32 th:TH_ATOMIC_RETURN scope:SCOPE_SYS
	s_wait_loadcnt 0x0
	v_cmpx_ne_u64_e64 v[6:7], v[18:19]
	s_cbranch_execz .LBB2_90
; %bb.88:                               ;   in Loop: Header=BB2_29 Depth=1
	s_mov_b32 s15, 0
.LBB2_89:                               ;   Parent Loop BB2_29 Depth=1
                                        ; =>  This Inner Loop Header: Depth=2
	v_dual_mov_b32 v4, s12 :: v_dual_mov_b32 v5, s13
	s_sleep 1
	global_store_b64 v[14:15], v[6:7], off
	global_wb scope:SCOPE_SYS
	s_wait_storecnt 0x0
	s_wait_xcnt 0x0
	global_atomic_cmpswap_b64 v[4:5], v11, v[4:7], s[2:3] offset:32 th:TH_ATOMIC_RETURN scope:SCOPE_SYS
	s_wait_loadcnt 0x0
	v_cmp_eq_u64_e32 vcc_lo, v[4:5], v[6:7]
	v_mov_b64_e32 v[6:7], v[4:5]
	s_or_b32 s15, vcc_lo, s15
	s_delay_alu instid0(SALU_CYCLE_1)
	s_and_not1_b32 exec_lo, exec_lo, s15
	s_cbranch_execnz .LBB2_89
.LBB2_90:                               ;   in Loop: Header=BB2_29 Depth=1
	s_or_b32 exec_lo, exec_lo, s14
	global_load_b64 v[4:5], v11, s[2:3] offset:16
	s_mov_b32 s15, exec_lo
	s_mov_b32 s14, exec_lo
	v_mbcnt_lo_u32_b32 v3, s15, 0
	s_wait_xcnt 0x0
	s_delay_alu instid0(VALU_DEP_1)
	v_cmpx_eq_u32_e32 0, v3
	s_cbranch_execz .LBB2_92
; %bb.91:                               ;   in Loop: Header=BB2_29 Depth=1
	s_bcnt1_i32_b32 s15, s15
	s_delay_alu instid0(SALU_CYCLE_1)
	v_mov_b32_e32 v10, s15
	global_wb scope:SCOPE_SYS
	s_wait_loadcnt 0x0
	s_wait_storecnt 0x0
	global_atomic_add_u64 v[4:5], v[10:11], off offset:8 scope:SCOPE_SYS
.LBB2_92:                               ;   in Loop: Header=BB2_29 Depth=1
	s_wait_xcnt 0x0
	s_or_b32 exec_lo, exec_lo, s14
	s_wait_loadcnt 0x0
	global_load_b64 v[6:7], v[4:5], off offset:16
	s_wait_loadcnt 0x0
	v_cmp_eq_u64_e32 vcc_lo, 0, v[6:7]
	s_cbranch_vccnz .LBB2_94
; %bb.93:                               ;   in Loop: Header=BB2_29 Depth=1
	global_load_b32 v10, v[4:5], off offset:24
	s_wait_loadcnt 0x0
	v_readfirstlane_b32 s14, v10
	global_wb scope:SCOPE_SYS
	s_wait_storecnt 0x0
	s_wait_xcnt 0x0
	global_store_b64 v[6:7], v[10:11], off scope:SCOPE_SYS
	s_and_b32 m0, s14, 0xffffff
	s_sendmsg sendmsg(MSG_INTERRUPT)
.LBB2_94:                               ;   in Loop: Header=BB2_29 Depth=1
	s_wait_xcnt 0x0
	s_or_b32 exec_lo, exec_lo, s1
	v_mov_b32_e32 v3, v11
	s_delay_alu instid0(VALU_DEP_1)
	v_add_nc_u64_e32 v[4:5], v[28:29], v[2:3]
	s_branch .LBB2_98
.LBB2_95:                               ;   in Loop: Header=BB2_98 Depth=2
	s_wait_xcnt 0x0
	s_or_b32 exec_lo, exec_lo, s1
	s_delay_alu instid0(VALU_DEP_1)
	v_readfirstlane_b32 s1, v3
	s_cmp_eq_u32 s1, 0
	s_cbranch_scc1 .LBB2_97
; %bb.96:                               ;   in Loop: Header=BB2_98 Depth=2
	s_sleep 1
	s_cbranch_execnz .LBB2_98
	s_branch .LBB2_100
.LBB2_97:                               ;   in Loop: Header=BB2_29 Depth=1
	s_branch .LBB2_100
.LBB2_98:                               ;   Parent Loop BB2_29 Depth=1
                                        ; =>  This Inner Loop Header: Depth=2
	v_mov_b32_e32 v3, 1
	s_and_saveexec_b32 s1, s0
	s_cbranch_execz .LBB2_95
; %bb.99:                               ;   in Loop: Header=BB2_98 Depth=2
	global_load_b32 v3, v[32:33], off offset:20 scope:SCOPE_SYS
	s_wait_loadcnt 0x0
	global_inv scope:SCOPE_SYS
	v_and_b32_e32 v3, 1, v3
	s_branch .LBB2_95
.LBB2_100:                              ;   in Loop: Header=BB2_29 Depth=1
	global_load_b64 v[4:5], v[4:5], off
	s_wait_xcnt 0x0
	s_and_saveexec_b32 s14, s0
	s_cbranch_execz .LBB2_28
; %bb.101:                              ;   in Loop: Header=BB2_29 Depth=1
	s_clause 0x2
	global_load_b64 v[6:7], v11, s[2:3] offset:40
	global_load_b64 v[18:19], v11, s[2:3] offset:24 scope:SCOPE_SYS
	global_load_b64 v[14:15], v11, s[2:3]
	s_wait_loadcnt 0x2
	v_readfirstlane_b32 s16, v6
	v_readfirstlane_b32 s17, v7
	s_add_nc_u64 s[0:1], s[16:17], 1
	s_delay_alu instid0(SALU_CYCLE_1) | instskip(NEXT) | instid1(SALU_CYCLE_1)
	s_add_nc_u64 s[12:13], s[0:1], s[12:13]
	s_cmp_eq_u64 s[12:13], 0
	s_cselect_b32 s1, s1, s13
	s_cselect_b32 s0, s0, s12
	s_delay_alu instid0(SALU_CYCLE_1) | instskip(SKIP_1) | instid1(SALU_CYCLE_1)
	v_dual_mov_b32 v17, s1 :: v_dual_mov_b32 v16, s0
	s_and_b64 s[12:13], s[0:1], s[16:17]
	s_mul_u64 s[12:13], s[12:13], 24
	s_wait_loadcnt 0x0
	v_add_nc_u64_e32 v[6:7], s[12:13], v[14:15]
	global_store_b64 v[6:7], v[18:19], off
	global_wb scope:SCOPE_SYS
	s_wait_storecnt 0x0
	s_wait_xcnt 0x0
	global_atomic_cmpswap_b64 v[16:17], v11, v[16:19], s[2:3] offset:24 th:TH_ATOMIC_RETURN scope:SCOPE_SYS
	s_wait_loadcnt 0x0
	v_cmp_ne_u64_e32 vcc_lo, v[16:17], v[18:19]
	s_and_b32 exec_lo, exec_lo, vcc_lo
	s_cbranch_execz .LBB2_28
; %bb.102:                              ;   in Loop: Header=BB2_29 Depth=1
	s_mov_b32 s12, 0
.LBB2_103:                              ;   Parent Loop BB2_29 Depth=1
                                        ; =>  This Inner Loop Header: Depth=2
	v_dual_mov_b32 v14, s0 :: v_dual_mov_b32 v15, s1
	s_sleep 1
	global_store_b64 v[6:7], v[16:17], off
	global_wb scope:SCOPE_SYS
	s_wait_storecnt 0x0
	s_wait_xcnt 0x0
	global_atomic_cmpswap_b64 v[14:15], v11, v[14:17], s[2:3] offset:24 th:TH_ATOMIC_RETURN scope:SCOPE_SYS
	s_wait_loadcnt 0x0
	v_cmp_eq_u64_e32 vcc_lo, v[14:15], v[16:17]
	v_mov_b64_e32 v[16:17], v[14:15]
	s_or_b32 s12, vcc_lo, s12
	s_delay_alu instid0(SALU_CYCLE_1)
	s_and_not1_b32 exec_lo, exec_lo, s12
	s_cbranch_execnz .LBB2_103
	s_branch .LBB2_28
.LBB2_104:
                                        ; implicit-def: $vgpr4_vgpr5
	s_cbranch_execnz .LBB2_106
	s_branch .LBB2_133
.LBB2_105:
	s_branch .LBB2_133
.LBB2_106:
	v_readfirstlane_b32 s0, v1
	v_mov_b64_e32 v[10:11], 0
	s_delay_alu instid0(VALU_DEP_2)
	v_cmp_eq_u32_e64 s0, s0, v1
	s_and_saveexec_b32 s1, s0
	s_cbranch_execz .LBB2_112
; %bb.107:
	v_mov_b32_e32 v3, 0
	s_mov_b32 s4, exec_lo
	global_load_b64 v[6:7], v3, s[2:3] offset:24 scope:SCOPE_SYS
	s_wait_loadcnt 0x0
	global_inv scope:SCOPE_SYS
	s_clause 0x1
	global_load_b64 v[4:5], v3, s[2:3] offset:40
	global_load_b64 v[10:11], v3, s[2:3]
	s_wait_loadcnt 0x1
	v_and_b32_e32 v4, v4, v6
	v_and_b32_e32 v5, v5, v7
	s_delay_alu instid0(VALU_DEP_1) | instskip(SKIP_1) | instid1(VALU_DEP_1)
	v_mul_u64_e32 v[4:5], 24, v[4:5]
	s_wait_loadcnt 0x0
	v_add_nc_u64_e32 v[4:5], v[10:11], v[4:5]
	global_load_b64 v[4:5], v[4:5], off scope:SCOPE_SYS
	s_wait_xcnt 0x0
	s_wait_loadcnt 0x0
	global_atomic_cmpswap_b64 v[10:11], v3, v[4:7], s[2:3] offset:24 th:TH_ATOMIC_RETURN scope:SCOPE_SYS
	s_wait_loadcnt 0x0
	global_inv scope:SCOPE_SYS
	s_wait_xcnt 0x0
	v_cmpx_ne_u64_e64 v[10:11], v[6:7]
	s_cbranch_execz .LBB2_111
; %bb.108:
	s_mov_b32 s5, 0
.LBB2_109:                              ; =>This Inner Loop Header: Depth=1
	s_sleep 1
	s_clause 0x1
	global_load_b64 v[4:5], v3, s[2:3] offset:40
	global_load_b64 v[12:13], v3, s[2:3]
	v_mov_b64_e32 v[6:7], v[10:11]
	s_wait_loadcnt 0x1
	s_delay_alu instid0(VALU_DEP_1) | instskip(SKIP_1) | instid1(VALU_DEP_1)
	v_and_b32_e32 v4, v4, v6
	s_wait_loadcnt 0x0
	v_mad_nc_u64_u32 v[10:11], v4, 24, v[12:13]
	s_delay_alu instid0(VALU_DEP_3) | instskip(NEXT) | instid1(VALU_DEP_1)
	v_and_b32_e32 v4, v5, v7
	v_mad_u32 v11, v4, 24, v11
	global_load_b64 v[4:5], v[10:11], off scope:SCOPE_SYS
	s_wait_xcnt 0x0
	s_wait_loadcnt 0x0
	global_atomic_cmpswap_b64 v[10:11], v3, v[4:7], s[2:3] offset:24 th:TH_ATOMIC_RETURN scope:SCOPE_SYS
	s_wait_loadcnt 0x0
	global_inv scope:SCOPE_SYS
	v_cmp_eq_u64_e32 vcc_lo, v[10:11], v[6:7]
	s_or_b32 s5, vcc_lo, s5
	s_wait_xcnt 0x0
	s_and_not1_b32 exec_lo, exec_lo, s5
	s_cbranch_execnz .LBB2_109
; %bb.110:
	s_or_b32 exec_lo, exec_lo, s5
.LBB2_111:
	s_delay_alu instid0(SALU_CYCLE_1)
	s_or_b32 exec_lo, exec_lo, s4
.LBB2_112:
	s_delay_alu instid0(SALU_CYCLE_1)
	s_or_b32 exec_lo, exec_lo, s1
	v_readfirstlane_b32 s4, v10
	v_mov_b32_e32 v3, 0
	v_readfirstlane_b32 s5, v11
	s_mov_b32 s1, exec_lo
	global_load_b64 v[12:13], v3, s[2:3] offset:40
	s_wait_loadcnt 0x1
	global_load_b128 v[4:7], v3, s[2:3]
	s_wait_loadcnt 0x1
	v_and_b32_e32 v10, s4, v12
	v_and_b32_e32 v11, s5, v13
	s_delay_alu instid0(VALU_DEP_1) | instskip(SKIP_1) | instid1(VALU_DEP_1)
	v_mul_u64_e32 v[12:13], 24, v[10:11]
	s_wait_loadcnt 0x0
	v_add_nc_u64_e32 v[12:13], v[4:5], v[12:13]
	s_wait_xcnt 0x0
	s_and_saveexec_b32 s6, s0
	s_cbranch_execz .LBB2_114
; %bb.113:
	v_mov_b64_e32 v[16:17], 0x100000002
	v_dual_mov_b32 v14, s1 :: v_dual_mov_b32 v15, v3
	global_store_b128 v[12:13], v[14:17], off offset:8
.LBB2_114:
	s_wait_xcnt 0x0
	s_or_b32 exec_lo, exec_lo, s6
	v_lshlrev_b64_e32 v[10:11], 12, v[10:11]
	s_mov_b32 s12, 0
	v_and_or_b32 v8, 0xffffff1f, v8, 32
	s_mov_b32 s14, s12
	s_mov_b32 s15, s12
	;; [unrolled: 1-line block ×3, first 2 shown]
	v_mov_b64_e32 v[18:19], s[14:15]
	v_add_nc_u64_e32 v[14:15], v[6:7], v[10:11]
	v_mov_b64_e32 v[16:17], s[12:13]
	v_dual_mov_b32 v10, v3 :: v_dual_mov_b32 v11, v3
	s_delay_alu instid0(VALU_DEP_3) | instskip(NEXT) | instid1(VALU_DEP_4)
	v_readfirstlane_b32 s6, v14
	v_readfirstlane_b32 s7, v15
	s_clause 0x3
	global_store_b128 v2, v[8:11], s[6:7]
	global_store_b128 v2, v[16:19], s[6:7] offset:16
	global_store_b128 v2, v[16:19], s[6:7] offset:32
	;; [unrolled: 1-line block ×3, first 2 shown]
	s_wait_xcnt 0x0
	s_and_saveexec_b32 s1, s0
	s_cbranch_execz .LBB2_122
; %bb.115:
	v_dual_mov_b32 v10, 0 :: v_dual_mov_b32 v17, s5
	s_mov_b32 s6, exec_lo
	s_clause 0x1
	global_load_b64 v[18:19], v10, s[2:3] offset:32 scope:SCOPE_SYS
	global_load_b64 v[6:7], v10, s[2:3] offset:40
	s_wait_loadcnt 0x0
	v_dual_mov_b32 v16, s4 :: v_dual_bitop2_b32 v7, s5, v7 bitop3:0x40
	v_and_b32_e32 v6, s4, v6
	s_delay_alu instid0(VALU_DEP_1) | instskip(NEXT) | instid1(VALU_DEP_1)
	v_mul_u64_e32 v[6:7], 24, v[6:7]
	v_add_nc_u64_e32 v[8:9], v[4:5], v[6:7]
	global_store_b64 v[8:9], v[18:19], off
	global_wb scope:SCOPE_SYS
	s_wait_storecnt 0x0
	s_wait_xcnt 0x0
	global_atomic_cmpswap_b64 v[6:7], v10, v[16:19], s[2:3] offset:32 th:TH_ATOMIC_RETURN scope:SCOPE_SYS
	s_wait_loadcnt 0x0
	v_cmpx_ne_u64_e64 v[6:7], v[18:19]
	s_cbranch_execz .LBB2_118
; %bb.116:
	s_mov_b32 s7, 0
.LBB2_117:                              ; =>This Inner Loop Header: Depth=1
	v_dual_mov_b32 v4, s4 :: v_dual_mov_b32 v5, s5
	s_sleep 1
	global_store_b64 v[8:9], v[6:7], off
	global_wb scope:SCOPE_SYS
	s_wait_storecnt 0x0
	s_wait_xcnt 0x0
	global_atomic_cmpswap_b64 v[4:5], v10, v[4:7], s[2:3] offset:32 th:TH_ATOMIC_RETURN scope:SCOPE_SYS
	s_wait_loadcnt 0x0
	v_cmp_eq_u64_e32 vcc_lo, v[4:5], v[6:7]
	v_mov_b64_e32 v[6:7], v[4:5]
	s_or_b32 s7, vcc_lo, s7
	s_delay_alu instid0(SALU_CYCLE_1)
	s_and_not1_b32 exec_lo, exec_lo, s7
	s_cbranch_execnz .LBB2_117
.LBB2_118:
	s_or_b32 exec_lo, exec_lo, s6
	v_mov_b32_e32 v7, 0
	s_mov_b32 s7, exec_lo
	s_mov_b32 s6, exec_lo
	v_mbcnt_lo_u32_b32 v6, s7, 0
	global_load_b64 v[4:5], v7, s[2:3] offset:16
	s_wait_xcnt 0x0
	v_cmpx_eq_u32_e32 0, v6
	s_cbranch_execz .LBB2_120
; %bb.119:
	s_bcnt1_i32_b32 s7, s7
	s_delay_alu instid0(SALU_CYCLE_1)
	v_mov_b32_e32 v6, s7
	global_wb scope:SCOPE_SYS
	s_wait_loadcnt 0x0
	s_wait_storecnt 0x0
	global_atomic_add_u64 v[4:5], v[6:7], off offset:8 scope:SCOPE_SYS
.LBB2_120:
	s_wait_xcnt 0x0
	s_or_b32 exec_lo, exec_lo, s6
	s_wait_loadcnt 0x0
	global_load_b64 v[6:7], v[4:5], off offset:16
	s_wait_loadcnt 0x0
	v_cmp_eq_u64_e32 vcc_lo, 0, v[6:7]
	s_cbranch_vccnz .LBB2_122
; %bb.121:
	global_load_b32 v4, v[4:5], off offset:24
	s_wait_xcnt 0x0
	v_mov_b32_e32 v5, 0
	s_wait_loadcnt 0x0
	v_readfirstlane_b32 s6, v4
	global_wb scope:SCOPE_SYS
	s_wait_storecnt 0x0
	global_store_b64 v[6:7], v[4:5], off scope:SCOPE_SYS
	s_and_b32 m0, s6, 0xffffff
	s_sendmsg sendmsg(MSG_INTERRUPT)
.LBB2_122:
	s_wait_xcnt 0x0
	s_or_b32 exec_lo, exec_lo, s1
	v_add_nc_u64_e32 v[4:5], v[14:15], v[2:3]
	s_branch .LBB2_126
.LBB2_123:                              ;   in Loop: Header=BB2_126 Depth=1
	s_wait_xcnt 0x0
	s_or_b32 exec_lo, exec_lo, s1
	s_delay_alu instid0(VALU_DEP_1)
	v_readfirstlane_b32 s1, v3
	s_cmp_eq_u32 s1, 0
	s_cbranch_scc1 .LBB2_125
; %bb.124:                              ;   in Loop: Header=BB2_126 Depth=1
	s_sleep 1
	s_cbranch_execnz .LBB2_126
	s_branch .LBB2_128
.LBB2_125:
	s_branch .LBB2_128
.LBB2_126:                              ; =>This Inner Loop Header: Depth=1
	v_mov_b32_e32 v3, 1
	s_and_saveexec_b32 s1, s0
	s_cbranch_execz .LBB2_123
; %bb.127:                              ;   in Loop: Header=BB2_126 Depth=1
	global_load_b32 v3, v[12:13], off offset:20 scope:SCOPE_SYS
	s_wait_loadcnt 0x0
	global_inv scope:SCOPE_SYS
	v_and_b32_e32 v3, 1, v3
	s_branch .LBB2_123
.LBB2_128:
	global_load_b64 v[4:5], v[4:5], off
	s_wait_xcnt 0x0
	s_and_saveexec_b32 s6, s0
	s_cbranch_execz .LBB2_132
; %bb.129:
	v_mov_b32_e32 v3, 0
	s_clause 0x2
	global_load_b64 v[6:7], v3, s[2:3] offset:40
	global_load_b64 v[14:15], v3, s[2:3] offset:24 scope:SCOPE_SYS
	global_load_b64 v[8:9], v3, s[2:3]
	s_wait_loadcnt 0x2
	v_readfirstlane_b32 s10, v6
	v_readfirstlane_b32 s11, v7
	s_add_nc_u64 s[0:1], s[10:11], 1
	s_delay_alu instid0(SALU_CYCLE_1) | instskip(NEXT) | instid1(SALU_CYCLE_1)
	s_add_nc_u64 s[4:5], s[0:1], s[4:5]
	s_cmp_eq_u64 s[4:5], 0
	s_cselect_b32 s1, s1, s5
	s_cselect_b32 s0, s0, s4
	v_mov_b32_e32 v13, s1
	s_and_b64 s[4:5], s[0:1], s[10:11]
	v_mov_b32_e32 v12, s0
	s_mul_u64 s[4:5], s[4:5], 24
	s_wait_loadcnt 0x0
	v_add_nc_u64_e32 v[10:11], s[4:5], v[8:9]
	global_store_b64 v[10:11], v[14:15], off
	global_wb scope:SCOPE_SYS
	s_wait_storecnt 0x0
	s_wait_xcnt 0x0
	global_atomic_cmpswap_b64 v[8:9], v3, v[12:15], s[2:3] offset:24 th:TH_ATOMIC_RETURN scope:SCOPE_SYS
	s_wait_loadcnt 0x0
	v_cmp_ne_u64_e32 vcc_lo, v[8:9], v[14:15]
	s_and_b32 exec_lo, exec_lo, vcc_lo
	s_cbranch_execz .LBB2_132
; %bb.130:
	s_mov_b32 s4, 0
.LBB2_131:                              ; =>This Inner Loop Header: Depth=1
	v_dual_mov_b32 v6, s0 :: v_dual_mov_b32 v7, s1
	s_sleep 1
	global_store_b64 v[10:11], v[8:9], off
	global_wb scope:SCOPE_SYS
	s_wait_storecnt 0x0
	s_wait_xcnt 0x0
	global_atomic_cmpswap_b64 v[6:7], v3, v[6:9], s[2:3] offset:24 th:TH_ATOMIC_RETURN scope:SCOPE_SYS
	s_wait_loadcnt 0x0
	v_cmp_eq_u64_e32 vcc_lo, v[6:7], v[8:9]
	v_mov_b64_e32 v[8:9], v[6:7]
	s_or_b32 s4, vcc_lo, s4
	s_delay_alu instid0(SALU_CYCLE_1)
	s_and_not1_b32 exec_lo, exec_lo, s4
	s_cbranch_execnz .LBB2_131
.LBB2_132:
	s_or_b32 exec_lo, exec_lo, s6
.LBB2_133:
	s_get_pc_i64 s[4:5]
	s_add_nc_u64 s[4:5], s[4:5], .str@rel64+4
	s_mov_b64 s[6:7], 0
	s_cmp_lg_u64 s[4:5], 0
	s_cselect_b32 s10, -1, 0
	s_cmp_eq_u64 s[4:5], 0
	s_cbranch_scc1 .LBB2_137
; %bb.134:
	s_get_pc_i64 s[0:1]
	s_add_nc_u64 s[0:1], s[0:1], .str@rel64+3
.LBB2_135:                              ; =>This Inner Loop Header: Depth=1
	s_load_u8 s6, s[0:1], 0x1
	s_wait_xcnt 0x0
	s_add_nc_u64 s[0:1], s[0:1], 1
	s_wait_kmcnt 0x0
	s_cmp_lg_u32 s6, 0
	s_cbranch_scc1 .LBB2_135
; %bb.136:
	s_get_pc_i64 s[6:7]
	s_add_nc_u64 s[6:7], s[6:7], .str@rel64+4
	s_delay_alu instid0(SALU_CYCLE_1) | instskip(NEXT) | instid1(SALU_CYCLE_1)
	s_sub_nc_u64 s[0:1], s[0:1], s[6:7]
	s_add_nc_u64 s[6:7], s[0:1], 1
.LBB2_137:
	s_and_b32 vcc_lo, exec_lo, s10
	s_cbranch_vccz .LBB2_215
; %bb.138:
	v_mov_b64_e32 v[12:13], 0x100000002
	s_wait_loadcnt 0x0
	v_dual_mov_b32 v11, 0 :: v_dual_bitop2_b32 v30, 2, v4 bitop3:0x40
	v_dual_mov_b32 v7, v5 :: v_dual_bitop2_b32 v6, -3, v4 bitop3:0x40
	s_branch .LBB2_140
.LBB2_139:                              ;   in Loop: Header=BB2_140 Depth=1
	s_or_b32 exec_lo, exec_lo, s14
	s_sub_nc_u64 s[6:7], s[6:7], s[10:11]
	s_add_nc_u64 s[4:5], s[4:5], s[10:11]
	s_cmp_lg_u64 s[6:7], 0
	s_cbranch_scc0 .LBB2_216
.LBB2_140:                              ; =>This Loop Header: Depth=1
                                        ;     Child Loop BB2_143 Depth 2
                                        ;     Child Loop BB2_150 Depth 2
	;; [unrolled: 1-line block ×11, first 2 shown]
	v_min_u64 v[8:9], s[6:7], 56
	v_cmp_gt_u64_e64 s0, s[6:7], 7
	s_and_b32 vcc_lo, exec_lo, s0
	v_readfirstlane_b32 s10, v8
	v_readfirstlane_b32 s11, v9
	s_cbranch_vccnz .LBB2_145
; %bb.141:                              ;   in Loop: Header=BB2_140 Depth=1
	v_mov_b64_e32 v[8:9], 0
	s_cmp_eq_u64 s[6:7], 0
	s_cbranch_scc1 .LBB2_144
; %bb.142:                              ;   in Loop: Header=BB2_140 Depth=1
	s_mov_b64 s[0:1], 0
	s_mov_b64 s[12:13], 0
.LBB2_143:                              ;   Parent Loop BB2_140 Depth=1
                                        ; =>  This Inner Loop Header: Depth=2
	s_wait_xcnt 0x0
	s_add_nc_u64 s[14:15], s[4:5], s[12:13]
	s_add_nc_u64 s[12:13], s[12:13], 1
	global_load_u8 v3, v11, s[14:15]
	s_cmp_lg_u32 s10, s12
	s_wait_loadcnt 0x0
	v_and_b32_e32 v10, 0xffff, v3
	s_delay_alu instid0(VALU_DEP_1) | instskip(SKIP_1) | instid1(VALU_DEP_1)
	v_lshlrev_b64_e32 v[14:15], s0, v[10:11]
	s_add_nc_u64 s[0:1], s[0:1], 8
	v_or_b32_e32 v8, v14, v8
	s_delay_alu instid0(VALU_DEP_2)
	v_or_b32_e32 v9, v15, v9
	s_cbranch_scc1 .LBB2_143
.LBB2_144:                              ;   in Loop: Header=BB2_140 Depth=1
	s_mov_b64 s[12:13], s[4:5]
	s_mov_b32 s16, 0
	s_cbranch_execz .LBB2_146
	s_branch .LBB2_147
.LBB2_145:                              ;   in Loop: Header=BB2_140 Depth=1
	s_add_nc_u64 s[12:13], s[4:5], 8
	s_mov_b32 s16, 0
.LBB2_146:                              ;   in Loop: Header=BB2_140 Depth=1
	global_load_b64 v[8:9], v11, s[4:5]
	s_add_co_i32 s16, s10, -8
.LBB2_147:                              ;   in Loop: Header=BB2_140 Depth=1
	s_delay_alu instid0(SALU_CYCLE_1)
	s_cmp_gt_u32 s16, 7
	s_cbranch_scc1 .LBB2_152
; %bb.148:                              ;   in Loop: Header=BB2_140 Depth=1
	v_mov_b64_e32 v[14:15], 0
	s_cmp_eq_u32 s16, 0
	s_cbranch_scc1 .LBB2_151
; %bb.149:                              ;   in Loop: Header=BB2_140 Depth=1
	s_mov_b64 s[0:1], 0
	s_wait_xcnt 0x0
	s_mov_b64 s[14:15], 0
.LBB2_150:                              ;   Parent Loop BB2_140 Depth=1
                                        ; =>  This Inner Loop Header: Depth=2
	s_wait_xcnt 0x0
	s_add_nc_u64 s[18:19], s[12:13], s[14:15]
	s_add_nc_u64 s[14:15], s[14:15], 1
	global_load_u8 v3, v11, s[18:19]
	s_cmp_lg_u32 s16, s14
	s_wait_loadcnt 0x0
	v_and_b32_e32 v10, 0xffff, v3
	s_delay_alu instid0(VALU_DEP_1) | instskip(SKIP_1) | instid1(VALU_DEP_1)
	v_lshlrev_b64_e32 v[16:17], s0, v[10:11]
	s_add_nc_u64 s[0:1], s[0:1], 8
	v_or_b32_e32 v14, v16, v14
	s_delay_alu instid0(VALU_DEP_2)
	v_or_b32_e32 v15, v17, v15
	s_cbranch_scc1 .LBB2_150
.LBB2_151:                              ;   in Loop: Header=BB2_140 Depth=1
	s_wait_xcnt 0x0
	s_mov_b64 s[0:1], s[12:13]
	s_mov_b32 s17, 0
	s_cbranch_execz .LBB2_153
	s_branch .LBB2_154
.LBB2_152:                              ;   in Loop: Header=BB2_140 Depth=1
	s_add_nc_u64 s[0:1], s[12:13], 8
	s_wait_xcnt 0x0
                                        ; implicit-def: $vgpr14_vgpr15
	s_mov_b32 s17, 0
.LBB2_153:                              ;   in Loop: Header=BB2_140 Depth=1
	global_load_b64 v[14:15], v11, s[12:13]
	s_add_co_i32 s17, s16, -8
.LBB2_154:                              ;   in Loop: Header=BB2_140 Depth=1
	s_delay_alu instid0(SALU_CYCLE_1)
	s_cmp_gt_u32 s17, 7
	s_cbranch_scc1 .LBB2_159
; %bb.155:                              ;   in Loop: Header=BB2_140 Depth=1
	v_mov_b64_e32 v[16:17], 0
	s_cmp_eq_u32 s17, 0
	s_cbranch_scc1 .LBB2_158
; %bb.156:                              ;   in Loop: Header=BB2_140 Depth=1
	s_wait_xcnt 0x0
	s_mov_b64 s[12:13], 0
	s_mov_b64 s[14:15], 0
.LBB2_157:                              ;   Parent Loop BB2_140 Depth=1
                                        ; =>  This Inner Loop Header: Depth=2
	s_wait_xcnt 0x0
	s_add_nc_u64 s[18:19], s[0:1], s[14:15]
	s_add_nc_u64 s[14:15], s[14:15], 1
	global_load_u8 v3, v11, s[18:19]
	s_cmp_lg_u32 s17, s14
	s_wait_loadcnt 0x0
	v_and_b32_e32 v10, 0xffff, v3
	s_delay_alu instid0(VALU_DEP_1) | instskip(SKIP_1) | instid1(VALU_DEP_1)
	v_lshlrev_b64_e32 v[18:19], s12, v[10:11]
	s_add_nc_u64 s[12:13], s[12:13], 8
	v_or_b32_e32 v16, v18, v16
	s_delay_alu instid0(VALU_DEP_2)
	v_or_b32_e32 v17, v19, v17
	s_cbranch_scc1 .LBB2_157
.LBB2_158:                              ;   in Loop: Header=BB2_140 Depth=1
	s_wait_xcnt 0x0
	s_mov_b64 s[12:13], s[0:1]
	s_mov_b32 s16, 0
	s_cbranch_execz .LBB2_160
	s_branch .LBB2_161
.LBB2_159:                              ;   in Loop: Header=BB2_140 Depth=1
	s_wait_xcnt 0x0
	s_add_nc_u64 s[12:13], s[0:1], 8
	s_mov_b32 s16, 0
.LBB2_160:                              ;   in Loop: Header=BB2_140 Depth=1
	global_load_b64 v[16:17], v11, s[0:1]
	s_add_co_i32 s16, s17, -8
.LBB2_161:                              ;   in Loop: Header=BB2_140 Depth=1
	s_delay_alu instid0(SALU_CYCLE_1)
	s_cmp_gt_u32 s16, 7
	s_cbranch_scc1 .LBB2_166
; %bb.162:                              ;   in Loop: Header=BB2_140 Depth=1
	v_mov_b64_e32 v[18:19], 0
	s_cmp_eq_u32 s16, 0
	s_cbranch_scc1 .LBB2_165
; %bb.163:                              ;   in Loop: Header=BB2_140 Depth=1
	s_wait_xcnt 0x0
	s_mov_b64 s[0:1], 0
	s_mov_b64 s[14:15], 0
.LBB2_164:                              ;   Parent Loop BB2_140 Depth=1
                                        ; =>  This Inner Loop Header: Depth=2
	s_wait_xcnt 0x0
	s_add_nc_u64 s[18:19], s[12:13], s[14:15]
	s_add_nc_u64 s[14:15], s[14:15], 1
	global_load_u8 v3, v11, s[18:19]
	s_cmp_lg_u32 s16, s14
	s_wait_loadcnt 0x0
	v_and_b32_e32 v10, 0xffff, v3
	s_delay_alu instid0(VALU_DEP_1) | instskip(SKIP_1) | instid1(VALU_DEP_1)
	v_lshlrev_b64_e32 v[20:21], s0, v[10:11]
	s_add_nc_u64 s[0:1], s[0:1], 8
	v_or_b32_e32 v18, v20, v18
	s_delay_alu instid0(VALU_DEP_2)
	v_or_b32_e32 v19, v21, v19
	s_cbranch_scc1 .LBB2_164
.LBB2_165:                              ;   in Loop: Header=BB2_140 Depth=1
	s_wait_xcnt 0x0
	s_mov_b64 s[0:1], s[12:13]
	s_mov_b32 s17, 0
	s_cbranch_execz .LBB2_167
	s_branch .LBB2_168
.LBB2_166:                              ;   in Loop: Header=BB2_140 Depth=1
	s_wait_xcnt 0x0
	s_add_nc_u64 s[0:1], s[12:13], 8
                                        ; implicit-def: $vgpr18_vgpr19
	s_mov_b32 s17, 0
.LBB2_167:                              ;   in Loop: Header=BB2_140 Depth=1
	global_load_b64 v[18:19], v11, s[12:13]
	s_add_co_i32 s17, s16, -8
.LBB2_168:                              ;   in Loop: Header=BB2_140 Depth=1
	s_delay_alu instid0(SALU_CYCLE_1)
	s_cmp_gt_u32 s17, 7
	s_cbranch_scc1 .LBB2_173
; %bb.169:                              ;   in Loop: Header=BB2_140 Depth=1
	v_mov_b64_e32 v[20:21], 0
	s_cmp_eq_u32 s17, 0
	s_cbranch_scc1 .LBB2_172
; %bb.170:                              ;   in Loop: Header=BB2_140 Depth=1
	s_wait_xcnt 0x0
	s_mov_b64 s[12:13], 0
	s_mov_b64 s[14:15], 0
.LBB2_171:                              ;   Parent Loop BB2_140 Depth=1
                                        ; =>  This Inner Loop Header: Depth=2
	s_wait_xcnt 0x0
	s_add_nc_u64 s[18:19], s[0:1], s[14:15]
	s_add_nc_u64 s[14:15], s[14:15], 1
	global_load_u8 v3, v11, s[18:19]
	s_cmp_lg_u32 s17, s14
	s_wait_loadcnt 0x0
	v_and_b32_e32 v10, 0xffff, v3
	s_delay_alu instid0(VALU_DEP_1) | instskip(SKIP_1) | instid1(VALU_DEP_1)
	v_lshlrev_b64_e32 v[22:23], s12, v[10:11]
	s_add_nc_u64 s[12:13], s[12:13], 8
	v_or_b32_e32 v20, v22, v20
	s_delay_alu instid0(VALU_DEP_2)
	v_or_b32_e32 v21, v23, v21
	s_cbranch_scc1 .LBB2_171
.LBB2_172:                              ;   in Loop: Header=BB2_140 Depth=1
	s_wait_xcnt 0x0
	s_mov_b64 s[12:13], s[0:1]
	s_mov_b32 s16, 0
	s_cbranch_execz .LBB2_174
	s_branch .LBB2_175
.LBB2_173:                              ;   in Loop: Header=BB2_140 Depth=1
	s_wait_xcnt 0x0
	s_add_nc_u64 s[12:13], s[0:1], 8
	s_mov_b32 s16, 0
.LBB2_174:                              ;   in Loop: Header=BB2_140 Depth=1
	global_load_b64 v[20:21], v11, s[0:1]
	s_add_co_i32 s16, s17, -8
.LBB2_175:                              ;   in Loop: Header=BB2_140 Depth=1
	s_delay_alu instid0(SALU_CYCLE_1)
	s_cmp_gt_u32 s16, 7
	s_cbranch_scc1 .LBB2_180
; %bb.176:                              ;   in Loop: Header=BB2_140 Depth=1
	v_mov_b64_e32 v[22:23], 0
	s_cmp_eq_u32 s16, 0
	s_cbranch_scc1 .LBB2_179
; %bb.177:                              ;   in Loop: Header=BB2_140 Depth=1
	s_wait_xcnt 0x0
	s_mov_b64 s[0:1], 0
	s_mov_b64 s[14:15], 0
.LBB2_178:                              ;   Parent Loop BB2_140 Depth=1
                                        ; =>  This Inner Loop Header: Depth=2
	s_wait_xcnt 0x0
	s_add_nc_u64 s[18:19], s[12:13], s[14:15]
	s_add_nc_u64 s[14:15], s[14:15], 1
	global_load_u8 v3, v11, s[18:19]
	s_cmp_lg_u32 s16, s14
	s_wait_loadcnt 0x0
	v_and_b32_e32 v10, 0xffff, v3
	s_delay_alu instid0(VALU_DEP_1) | instskip(SKIP_1) | instid1(VALU_DEP_1)
	v_lshlrev_b64_e32 v[24:25], s0, v[10:11]
	s_add_nc_u64 s[0:1], s[0:1], 8
	v_or_b32_e32 v22, v24, v22
	s_delay_alu instid0(VALU_DEP_2)
	v_or_b32_e32 v23, v25, v23
	s_cbranch_scc1 .LBB2_178
.LBB2_179:                              ;   in Loop: Header=BB2_140 Depth=1
	s_wait_xcnt 0x0
	s_mov_b64 s[0:1], s[12:13]
	s_mov_b32 s17, 0
	s_cbranch_execz .LBB2_181
	s_branch .LBB2_182
.LBB2_180:                              ;   in Loop: Header=BB2_140 Depth=1
	s_wait_xcnt 0x0
	s_add_nc_u64 s[0:1], s[12:13], 8
                                        ; implicit-def: $vgpr22_vgpr23
	s_mov_b32 s17, 0
.LBB2_181:                              ;   in Loop: Header=BB2_140 Depth=1
	global_load_b64 v[22:23], v11, s[12:13]
	s_add_co_i32 s17, s16, -8
.LBB2_182:                              ;   in Loop: Header=BB2_140 Depth=1
	s_delay_alu instid0(SALU_CYCLE_1)
	s_cmp_gt_u32 s17, 7
	s_cbranch_scc1 .LBB2_187
; %bb.183:                              ;   in Loop: Header=BB2_140 Depth=1
	v_mov_b64_e32 v[24:25], 0
	s_cmp_eq_u32 s17, 0
	s_cbranch_scc1 .LBB2_186
; %bb.184:                              ;   in Loop: Header=BB2_140 Depth=1
	s_wait_xcnt 0x0
	s_mov_b64 s[12:13], 0
	s_mov_b64 s[14:15], s[0:1]
.LBB2_185:                              ;   Parent Loop BB2_140 Depth=1
                                        ; =>  This Inner Loop Header: Depth=2
	global_load_u8 v3, v11, s[14:15]
	s_add_co_i32 s17, s17, -1
	s_wait_xcnt 0x0
	s_add_nc_u64 s[14:15], s[14:15], 1
	s_cmp_lg_u32 s17, 0
	s_wait_loadcnt 0x0
	v_and_b32_e32 v10, 0xffff, v3
	s_delay_alu instid0(VALU_DEP_1) | instskip(SKIP_1) | instid1(VALU_DEP_1)
	v_lshlrev_b64_e32 v[26:27], s12, v[10:11]
	s_add_nc_u64 s[12:13], s[12:13], 8
	v_or_b32_e32 v24, v26, v24
	s_delay_alu instid0(VALU_DEP_2)
	v_or_b32_e32 v25, v27, v25
	s_cbranch_scc1 .LBB2_185
.LBB2_186:                              ;   in Loop: Header=BB2_140 Depth=1
	s_wait_xcnt 0x0
	s_cbranch_execz .LBB2_188
	s_branch .LBB2_189
.LBB2_187:                              ;   in Loop: Header=BB2_140 Depth=1
	s_wait_xcnt 0x0
.LBB2_188:                              ;   in Loop: Header=BB2_140 Depth=1
	global_load_b64 v[24:25], v11, s[0:1]
.LBB2_189:                              ;   in Loop: Header=BB2_140 Depth=1
	s_wait_xcnt 0x0
	v_readfirstlane_b32 s0, v1
	v_mov_b64_e32 v[32:33], 0
	s_delay_alu instid0(VALU_DEP_2)
	v_cmp_eq_u32_e64 s0, s0, v1
	s_and_saveexec_b32 s1, s0
	s_cbranch_execz .LBB2_195
; %bb.190:                              ;   in Loop: Header=BB2_140 Depth=1
	global_load_b64 v[28:29], v11, s[2:3] offset:24 scope:SCOPE_SYS
	s_wait_loadcnt 0x0
	global_inv scope:SCOPE_SYS
	s_clause 0x1
	global_load_b64 v[26:27], v11, s[2:3] offset:40
	global_load_b64 v[32:33], v11, s[2:3]
	s_mov_b32 s12, exec_lo
	s_wait_loadcnt 0x1
	v_and_b32_e32 v26, v26, v28
	v_and_b32_e32 v27, v27, v29
	s_delay_alu instid0(VALU_DEP_1) | instskip(SKIP_1) | instid1(VALU_DEP_1)
	v_mul_u64_e32 v[26:27], 24, v[26:27]
	s_wait_loadcnt 0x0
	v_add_nc_u64_e32 v[26:27], v[32:33], v[26:27]
	global_load_b64 v[26:27], v[26:27], off scope:SCOPE_SYS
	s_wait_xcnt 0x0
	s_wait_loadcnt 0x0
	global_atomic_cmpswap_b64 v[32:33], v11, v[26:29], s[2:3] offset:24 th:TH_ATOMIC_RETURN scope:SCOPE_SYS
	s_wait_loadcnt 0x0
	global_inv scope:SCOPE_SYS
	s_wait_xcnt 0x0
	v_cmpx_ne_u64_e64 v[32:33], v[28:29]
	s_cbranch_execz .LBB2_194
; %bb.191:                              ;   in Loop: Header=BB2_140 Depth=1
	s_mov_b32 s13, 0
.LBB2_192:                              ;   Parent Loop BB2_140 Depth=1
                                        ; =>  This Inner Loop Header: Depth=2
	s_sleep 1
	s_clause 0x1
	global_load_b64 v[26:27], v11, s[2:3] offset:40
	global_load_b64 v[34:35], v11, s[2:3]
	v_mov_b64_e32 v[28:29], v[32:33]
	s_wait_loadcnt 0x1
	s_delay_alu instid0(VALU_DEP_1) | instskip(SKIP_1) | instid1(VALU_DEP_1)
	v_and_b32_e32 v3, v26, v28
	s_wait_loadcnt 0x0
	v_mad_nc_u64_u32 v[32:33], v3, 24, v[34:35]
	s_delay_alu instid0(VALU_DEP_3) | instskip(NEXT) | instid1(VALU_DEP_1)
	v_and_b32_e32 v3, v27, v29
	v_mad_u32 v33, v3, 24, v33
	global_load_b64 v[26:27], v[32:33], off scope:SCOPE_SYS
	s_wait_xcnt 0x0
	s_wait_loadcnt 0x0
	global_atomic_cmpswap_b64 v[32:33], v11, v[26:29], s[2:3] offset:24 th:TH_ATOMIC_RETURN scope:SCOPE_SYS
	s_wait_loadcnt 0x0
	global_inv scope:SCOPE_SYS
	v_cmp_eq_u64_e32 vcc_lo, v[32:33], v[28:29]
	s_or_b32 s13, vcc_lo, s13
	s_wait_xcnt 0x0
	s_and_not1_b32 exec_lo, exec_lo, s13
	s_cbranch_execnz .LBB2_192
; %bb.193:                              ;   in Loop: Header=BB2_140 Depth=1
	s_or_b32 exec_lo, exec_lo, s13
.LBB2_194:                              ;   in Loop: Header=BB2_140 Depth=1
	s_delay_alu instid0(SALU_CYCLE_1)
	s_or_b32 exec_lo, exec_lo, s12
.LBB2_195:                              ;   in Loop: Header=BB2_140 Depth=1
	s_delay_alu instid0(SALU_CYCLE_1)
	s_or_b32 exec_lo, exec_lo, s1
	s_clause 0x1
	global_load_b64 v[34:35], v11, s[2:3] offset:40
	global_load_b128 v[26:29], v11, s[2:3]
	v_readfirstlane_b32 s12, v32
	v_readfirstlane_b32 s13, v33
	s_mov_b32 s1, exec_lo
	s_wait_loadcnt 0x1
	v_and_b32_e32 v34, s12, v34
	v_and_b32_e32 v35, s13, v35
	s_delay_alu instid0(VALU_DEP_1) | instskip(SKIP_1) | instid1(VALU_DEP_1)
	v_mul_u64_e32 v[32:33], 24, v[34:35]
	s_wait_loadcnt 0x0
	v_add_nc_u64_e32 v[32:33], v[26:27], v[32:33]
	s_wait_xcnt 0x0
	s_and_saveexec_b32 s14, s0
	s_cbranch_execz .LBB2_197
; %bb.196:                              ;   in Loop: Header=BB2_140 Depth=1
	v_mov_b32_e32 v10, s1
	global_store_b128 v[32:33], v[10:13], off offset:8
.LBB2_197:                              ;   in Loop: Header=BB2_140 Depth=1
	s_wait_xcnt 0x0
	s_or_b32 exec_lo, exec_lo, s14
	v_cmp_lt_u64_e64 vcc_lo, s[6:7], 57
	v_lshlrev_b64_e32 v[34:35], 12, v[34:35]
	v_and_b32_e32 v6, 0xffffff1f, v6
	s_lshl_b32 s1, s10, 2
	s_delay_alu instid0(SALU_CYCLE_1) | instskip(SKIP_1) | instid1(VALU_DEP_3)
	s_add_co_i32 s1, s1, 28
	v_cndmask_b32_e32 v3, 0, v30, vcc_lo
	v_add_nc_u64_e32 v[28:29], v[28:29], v[34:35]
	s_delay_alu instid0(VALU_DEP_2) | instskip(NEXT) | instid1(VALU_DEP_2)
	v_or_b32_e32 v3, v6, v3
	v_readfirstlane_b32 s14, v28
	s_delay_alu instid0(VALU_DEP_3) | instskip(NEXT) | instid1(VALU_DEP_3)
	v_readfirstlane_b32 s15, v29
	v_and_or_b32 v6, 0x1e0, s1, v3
	s_clause 0x3
	global_store_b128 v2, v[6:9], s[14:15]
	global_store_b128 v2, v[14:17], s[14:15] offset:16
	global_store_b128 v2, v[18:21], s[14:15] offset:32
	;; [unrolled: 1-line block ×3, first 2 shown]
	s_wait_xcnt 0x0
	s_and_saveexec_b32 s1, s0
	s_cbranch_execz .LBB2_205
; %bb.198:                              ;   in Loop: Header=BB2_140 Depth=1
	s_clause 0x1
	global_load_b64 v[18:19], v11, s[2:3] offset:32 scope:SCOPE_SYS
	global_load_b64 v[6:7], v11, s[2:3] offset:40
	s_mov_b32 s14, exec_lo
	v_dual_mov_b32 v16, s12 :: v_dual_mov_b32 v17, s13
	s_wait_loadcnt 0x0
	v_and_b32_e32 v7, s13, v7
	v_and_b32_e32 v6, s12, v6
	s_delay_alu instid0(VALU_DEP_1) | instskip(NEXT) | instid1(VALU_DEP_1)
	v_mul_u64_e32 v[6:7], 24, v[6:7]
	v_add_nc_u64_e32 v[14:15], v[26:27], v[6:7]
	global_store_b64 v[14:15], v[18:19], off
	global_wb scope:SCOPE_SYS
	s_wait_storecnt 0x0
	s_wait_xcnt 0x0
	global_atomic_cmpswap_b64 v[8:9], v11, v[16:19], s[2:3] offset:32 th:TH_ATOMIC_RETURN scope:SCOPE_SYS
	s_wait_loadcnt 0x0
	v_cmpx_ne_u64_e64 v[8:9], v[18:19]
	s_cbranch_execz .LBB2_201
; %bb.199:                              ;   in Loop: Header=BB2_140 Depth=1
	s_mov_b32 s15, 0
.LBB2_200:                              ;   Parent Loop BB2_140 Depth=1
                                        ; =>  This Inner Loop Header: Depth=2
	v_dual_mov_b32 v6, s12 :: v_dual_mov_b32 v7, s13
	s_sleep 1
	global_store_b64 v[14:15], v[8:9], off
	global_wb scope:SCOPE_SYS
	s_wait_storecnt 0x0
	s_wait_xcnt 0x0
	global_atomic_cmpswap_b64 v[6:7], v11, v[6:9], s[2:3] offset:32 th:TH_ATOMIC_RETURN scope:SCOPE_SYS
	s_wait_loadcnt 0x0
	v_cmp_eq_u64_e32 vcc_lo, v[6:7], v[8:9]
	v_mov_b64_e32 v[8:9], v[6:7]
	s_or_b32 s15, vcc_lo, s15
	s_delay_alu instid0(SALU_CYCLE_1)
	s_and_not1_b32 exec_lo, exec_lo, s15
	s_cbranch_execnz .LBB2_200
.LBB2_201:                              ;   in Loop: Header=BB2_140 Depth=1
	s_or_b32 exec_lo, exec_lo, s14
	global_load_b64 v[6:7], v11, s[2:3] offset:16
	s_mov_b32 s15, exec_lo
	s_mov_b32 s14, exec_lo
	v_mbcnt_lo_u32_b32 v3, s15, 0
	s_wait_xcnt 0x0
	s_delay_alu instid0(VALU_DEP_1)
	v_cmpx_eq_u32_e32 0, v3
	s_cbranch_execz .LBB2_203
; %bb.202:                              ;   in Loop: Header=BB2_140 Depth=1
	s_bcnt1_i32_b32 s15, s15
	s_delay_alu instid0(SALU_CYCLE_1)
	v_mov_b32_e32 v10, s15
	global_wb scope:SCOPE_SYS
	s_wait_loadcnt 0x0
	s_wait_storecnt 0x0
	global_atomic_add_u64 v[6:7], v[10:11], off offset:8 scope:SCOPE_SYS
.LBB2_203:                              ;   in Loop: Header=BB2_140 Depth=1
	s_wait_xcnt 0x0
	s_or_b32 exec_lo, exec_lo, s14
	s_wait_loadcnt 0x0
	global_load_b64 v[8:9], v[6:7], off offset:16
	s_wait_loadcnt 0x0
	v_cmp_eq_u64_e32 vcc_lo, 0, v[8:9]
	s_cbranch_vccnz .LBB2_205
; %bb.204:                              ;   in Loop: Header=BB2_140 Depth=1
	global_load_b32 v10, v[6:7], off offset:24
	s_wait_loadcnt 0x0
	v_readfirstlane_b32 s14, v10
	global_wb scope:SCOPE_SYS
	s_wait_storecnt 0x0
	s_wait_xcnt 0x0
	global_store_b64 v[8:9], v[10:11], off scope:SCOPE_SYS
	s_and_b32 m0, s14, 0xffffff
	s_sendmsg sendmsg(MSG_INTERRUPT)
.LBB2_205:                              ;   in Loop: Header=BB2_140 Depth=1
	s_wait_xcnt 0x0
	s_or_b32 exec_lo, exec_lo, s1
	v_mov_b32_e32 v3, v11
	s_delay_alu instid0(VALU_DEP_1)
	v_add_nc_u64_e32 v[6:7], v[28:29], v[2:3]
	s_branch .LBB2_209
.LBB2_206:                              ;   in Loop: Header=BB2_209 Depth=2
	s_wait_xcnt 0x0
	s_or_b32 exec_lo, exec_lo, s1
	s_delay_alu instid0(VALU_DEP_1)
	v_readfirstlane_b32 s1, v3
	s_cmp_eq_u32 s1, 0
	s_cbranch_scc1 .LBB2_208
; %bb.207:                              ;   in Loop: Header=BB2_209 Depth=2
	s_sleep 1
	s_cbranch_execnz .LBB2_209
	s_branch .LBB2_211
.LBB2_208:                              ;   in Loop: Header=BB2_140 Depth=1
	s_branch .LBB2_211
.LBB2_209:                              ;   Parent Loop BB2_140 Depth=1
                                        ; =>  This Inner Loop Header: Depth=2
	v_mov_b32_e32 v3, 1
	s_and_saveexec_b32 s1, s0
	s_cbranch_execz .LBB2_206
; %bb.210:                              ;   in Loop: Header=BB2_209 Depth=2
	global_load_b32 v3, v[32:33], off offset:20 scope:SCOPE_SYS
	s_wait_loadcnt 0x0
	global_inv scope:SCOPE_SYS
	v_and_b32_e32 v3, 1, v3
	s_branch .LBB2_206
.LBB2_211:                              ;   in Loop: Header=BB2_140 Depth=1
	global_load_b64 v[6:7], v[6:7], off
	s_wait_xcnt 0x0
	s_and_saveexec_b32 s14, s0
	s_cbranch_execz .LBB2_139
; %bb.212:                              ;   in Loop: Header=BB2_140 Depth=1
	s_clause 0x2
	global_load_b64 v[8:9], v11, s[2:3] offset:40
	global_load_b64 v[18:19], v11, s[2:3] offset:24 scope:SCOPE_SYS
	global_load_b64 v[14:15], v11, s[2:3]
	s_wait_loadcnt 0x2
	v_readfirstlane_b32 s16, v8
	v_readfirstlane_b32 s17, v9
	s_add_nc_u64 s[0:1], s[16:17], 1
	s_delay_alu instid0(SALU_CYCLE_1) | instskip(NEXT) | instid1(SALU_CYCLE_1)
	s_add_nc_u64 s[12:13], s[0:1], s[12:13]
	s_cmp_eq_u64 s[12:13], 0
	s_cselect_b32 s1, s1, s13
	s_cselect_b32 s0, s0, s12
	s_delay_alu instid0(SALU_CYCLE_1) | instskip(SKIP_1) | instid1(SALU_CYCLE_1)
	v_dual_mov_b32 v17, s1 :: v_dual_mov_b32 v16, s0
	s_and_b64 s[12:13], s[0:1], s[16:17]
	s_mul_u64 s[12:13], s[12:13], 24
	s_wait_loadcnt 0x0
	v_add_nc_u64_e32 v[8:9], s[12:13], v[14:15]
	global_store_b64 v[8:9], v[18:19], off
	global_wb scope:SCOPE_SYS
	s_wait_storecnt 0x0
	s_wait_xcnt 0x0
	global_atomic_cmpswap_b64 v[16:17], v11, v[16:19], s[2:3] offset:24 th:TH_ATOMIC_RETURN scope:SCOPE_SYS
	s_wait_loadcnt 0x0
	v_cmp_ne_u64_e32 vcc_lo, v[16:17], v[18:19]
	s_and_b32 exec_lo, exec_lo, vcc_lo
	s_cbranch_execz .LBB2_139
; %bb.213:                              ;   in Loop: Header=BB2_140 Depth=1
	s_mov_b32 s12, 0
.LBB2_214:                              ;   Parent Loop BB2_140 Depth=1
                                        ; =>  This Inner Loop Header: Depth=2
	v_dual_mov_b32 v14, s0 :: v_dual_mov_b32 v15, s1
	s_sleep 1
	global_store_b64 v[8:9], v[16:17], off
	global_wb scope:SCOPE_SYS
	s_wait_storecnt 0x0
	s_wait_xcnt 0x0
	global_atomic_cmpswap_b64 v[14:15], v11, v[14:17], s[2:3] offset:24 th:TH_ATOMIC_RETURN scope:SCOPE_SYS
	s_wait_loadcnt 0x0
	v_cmp_eq_u64_e32 vcc_lo, v[14:15], v[16:17]
	v_mov_b64_e32 v[16:17], v[14:15]
	s_or_b32 s12, vcc_lo, s12
	s_delay_alu instid0(SALU_CYCLE_1)
	s_and_not1_b32 exec_lo, exec_lo, s12
	s_cbranch_execnz .LBB2_214
	s_branch .LBB2_139
.LBB2_215:
                                        ; implicit-def: $vgpr6_vgpr7
	s_cbranch_execnz .LBB2_217
	s_branch .LBB2_244
.LBB2_216:
	s_branch .LBB2_244
.LBB2_217:
	v_readfirstlane_b32 s0, v1
	s_wait_loadcnt 0x0
	v_mov_b64_e32 v[6:7], 0
	s_delay_alu instid0(VALU_DEP_2)
	v_cmp_eq_u32_e64 s0, s0, v1
	s_and_saveexec_b32 s1, s0
	s_cbranch_execz .LBB2_223
; %bb.218:
	v_mov_b32_e32 v3, 0
	s_mov_b32 s4, exec_lo
	global_load_b64 v[8:9], v3, s[2:3] offset:24 scope:SCOPE_SYS
	s_wait_loadcnt 0x0
	global_inv scope:SCOPE_SYS
	s_clause 0x1
	global_load_b64 v[6:7], v3, s[2:3] offset:40
	global_load_b64 v[10:11], v3, s[2:3]
	s_wait_loadcnt 0x1
	v_and_b32_e32 v6, v6, v8
	v_and_b32_e32 v7, v7, v9
	s_delay_alu instid0(VALU_DEP_1) | instskip(SKIP_1) | instid1(VALU_DEP_1)
	v_mul_u64_e32 v[6:7], 24, v[6:7]
	s_wait_loadcnt 0x0
	v_add_nc_u64_e32 v[6:7], v[10:11], v[6:7]
	global_load_b64 v[6:7], v[6:7], off scope:SCOPE_SYS
	s_wait_xcnt 0x0
	s_wait_loadcnt 0x0
	global_atomic_cmpswap_b64 v[6:7], v3, v[6:9], s[2:3] offset:24 th:TH_ATOMIC_RETURN scope:SCOPE_SYS
	s_wait_loadcnt 0x0
	global_inv scope:SCOPE_SYS
	s_wait_xcnt 0x0
	v_cmpx_ne_u64_e64 v[6:7], v[8:9]
	s_cbranch_execz .LBB2_222
; %bb.219:
	s_mov_b32 s5, 0
.LBB2_220:                              ; =>This Inner Loop Header: Depth=1
	s_sleep 1
	s_clause 0x1
	global_load_b64 v[10:11], v3, s[2:3] offset:40
	global_load_b64 v[12:13], v3, s[2:3]
	v_mov_b64_e32 v[8:9], v[6:7]
	s_wait_loadcnt 0x1
	s_delay_alu instid0(VALU_DEP_1) | instskip(NEXT) | instid1(VALU_DEP_2)
	v_and_b32_e32 v6, v10, v8
	v_and_b32_e32 v10, v11, v9
	s_wait_loadcnt 0x0
	s_delay_alu instid0(VALU_DEP_2) | instskip(NEXT) | instid1(VALU_DEP_1)
	v_mad_nc_u64_u32 v[6:7], v6, 24, v[12:13]
	v_mad_u32 v7, v10, 24, v7
	global_load_b64 v[6:7], v[6:7], off scope:SCOPE_SYS
	s_wait_xcnt 0x0
	s_wait_loadcnt 0x0
	global_atomic_cmpswap_b64 v[6:7], v3, v[6:9], s[2:3] offset:24 th:TH_ATOMIC_RETURN scope:SCOPE_SYS
	s_wait_loadcnt 0x0
	global_inv scope:SCOPE_SYS
	v_cmp_eq_u64_e32 vcc_lo, v[6:7], v[8:9]
	s_or_b32 s5, vcc_lo, s5
	s_wait_xcnt 0x0
	s_and_not1_b32 exec_lo, exec_lo, s5
	s_cbranch_execnz .LBB2_220
; %bb.221:
	s_or_b32 exec_lo, exec_lo, s5
.LBB2_222:
	s_delay_alu instid0(SALU_CYCLE_1)
	s_or_b32 exec_lo, exec_lo, s4
.LBB2_223:
	s_delay_alu instid0(SALU_CYCLE_1)
	s_or_b32 exec_lo, exec_lo, s1
	v_readfirstlane_b32 s4, v6
	v_mov_b32_e32 v3, 0
	v_readfirstlane_b32 s5, v7
	s_mov_b32 s1, exec_lo
	s_clause 0x1
	global_load_b64 v[12:13], v3, s[2:3] offset:40
	global_load_b128 v[8:11], v3, s[2:3]
	s_wait_loadcnt 0x1
	v_and_b32_e32 v6, s4, v12
	v_and_b32_e32 v7, s5, v13
	s_delay_alu instid0(VALU_DEP_1) | instskip(SKIP_1) | instid1(VALU_DEP_1)
	v_mul_u64_e32 v[12:13], 24, v[6:7]
	s_wait_loadcnt 0x0
	v_add_nc_u64_e32 v[12:13], v[8:9], v[12:13]
	s_wait_xcnt 0x0
	s_and_saveexec_b32 s6, s0
	s_cbranch_execz .LBB2_225
; %bb.224:
	v_mov_b64_e32 v[16:17], 0x100000002
	v_dual_mov_b32 v14, s1 :: v_dual_mov_b32 v15, v3
	global_store_b128 v[12:13], v[14:17], off offset:8
.LBB2_225:
	s_wait_xcnt 0x0
	s_or_b32 exec_lo, exec_lo, s6
	v_lshlrev_b64_e32 v[6:7], 12, v[6:7]
	s_mov_b32 s12, 0
	v_and_or_b32 v4, 0xffffff1f, v4, 32
	s_mov_b32 s14, s12
	s_mov_b32 s15, s12
	;; [unrolled: 1-line block ×3, first 2 shown]
	v_mov_b64_e32 v[16:17], s[14:15]
	v_add_nc_u64_e32 v[10:11], v[10:11], v[6:7]
	v_mov_b64_e32 v[14:15], s[12:13]
	v_dual_mov_b32 v6, v3 :: v_dual_mov_b32 v7, v3
	s_delay_alu instid0(VALU_DEP_3) | instskip(NEXT) | instid1(VALU_DEP_4)
	v_readfirstlane_b32 s6, v10
	v_readfirstlane_b32 s7, v11
	s_clause 0x3
	global_store_b128 v2, v[4:7], s[6:7]
	global_store_b128 v2, v[14:17], s[6:7] offset:16
	global_store_b128 v2, v[14:17], s[6:7] offset:32
	;; [unrolled: 1-line block ×3, first 2 shown]
	s_wait_xcnt 0x0
	s_and_saveexec_b32 s1, s0
	s_cbranch_execz .LBB2_233
; %bb.226:
	v_dual_mov_b32 v14, 0 :: v_dual_mov_b32 v17, s5
	s_mov_b32 s6, exec_lo
	s_clause 0x1
	global_load_b64 v[18:19], v14, s[2:3] offset:32 scope:SCOPE_SYS
	global_load_b64 v[4:5], v14, s[2:3] offset:40
	s_wait_loadcnt 0x0
	v_dual_mov_b32 v16, s4 :: v_dual_bitop2_b32 v5, s5, v5 bitop3:0x40
	v_and_b32_e32 v4, s4, v4
	s_delay_alu instid0(VALU_DEP_1) | instskip(NEXT) | instid1(VALU_DEP_1)
	v_mul_u64_e32 v[4:5], 24, v[4:5]
	v_add_nc_u64_e32 v[8:9], v[8:9], v[4:5]
	global_store_b64 v[8:9], v[18:19], off
	global_wb scope:SCOPE_SYS
	s_wait_storecnt 0x0
	s_wait_xcnt 0x0
	global_atomic_cmpswap_b64 v[6:7], v14, v[16:19], s[2:3] offset:32 th:TH_ATOMIC_RETURN scope:SCOPE_SYS
	s_wait_loadcnt 0x0
	v_cmpx_ne_u64_e64 v[6:7], v[18:19]
	s_cbranch_execz .LBB2_229
; %bb.227:
	s_mov_b32 s7, 0
.LBB2_228:                              ; =>This Inner Loop Header: Depth=1
	v_dual_mov_b32 v4, s4 :: v_dual_mov_b32 v5, s5
	s_sleep 1
	global_store_b64 v[8:9], v[6:7], off
	global_wb scope:SCOPE_SYS
	s_wait_storecnt 0x0
	s_wait_xcnt 0x0
	global_atomic_cmpswap_b64 v[4:5], v14, v[4:7], s[2:3] offset:32 th:TH_ATOMIC_RETURN scope:SCOPE_SYS
	s_wait_loadcnt 0x0
	v_cmp_eq_u64_e32 vcc_lo, v[4:5], v[6:7]
	v_mov_b64_e32 v[6:7], v[4:5]
	s_or_b32 s7, vcc_lo, s7
	s_delay_alu instid0(SALU_CYCLE_1)
	s_and_not1_b32 exec_lo, exec_lo, s7
	s_cbranch_execnz .LBB2_228
.LBB2_229:
	s_or_b32 exec_lo, exec_lo, s6
	v_mov_b32_e32 v7, 0
	s_mov_b32 s7, exec_lo
	s_mov_b32 s6, exec_lo
	v_mbcnt_lo_u32_b32 v6, s7, 0
	global_load_b64 v[4:5], v7, s[2:3] offset:16
	s_wait_xcnt 0x0
	v_cmpx_eq_u32_e32 0, v6
	s_cbranch_execz .LBB2_231
; %bb.230:
	s_bcnt1_i32_b32 s7, s7
	s_delay_alu instid0(SALU_CYCLE_1)
	v_mov_b32_e32 v6, s7
	global_wb scope:SCOPE_SYS
	s_wait_loadcnt 0x0
	s_wait_storecnt 0x0
	global_atomic_add_u64 v[4:5], v[6:7], off offset:8 scope:SCOPE_SYS
.LBB2_231:
	s_wait_xcnt 0x0
	s_or_b32 exec_lo, exec_lo, s6
	s_wait_loadcnt 0x0
	global_load_b64 v[6:7], v[4:5], off offset:16
	s_wait_loadcnt 0x0
	v_cmp_eq_u64_e32 vcc_lo, 0, v[6:7]
	s_cbranch_vccnz .LBB2_233
; %bb.232:
	global_load_b32 v4, v[4:5], off offset:24
	s_wait_xcnt 0x0
	v_mov_b32_e32 v5, 0
	s_wait_loadcnt 0x0
	v_readfirstlane_b32 s6, v4
	global_wb scope:SCOPE_SYS
	s_wait_storecnt 0x0
	global_store_b64 v[6:7], v[4:5], off scope:SCOPE_SYS
	s_and_b32 m0, s6, 0xffffff
	s_sendmsg sendmsg(MSG_INTERRUPT)
.LBB2_233:
	s_wait_xcnt 0x0
	s_or_b32 exec_lo, exec_lo, s1
	v_add_nc_u64_e32 v[4:5], v[10:11], v[2:3]
	s_branch .LBB2_237
.LBB2_234:                              ;   in Loop: Header=BB2_237 Depth=1
	s_wait_xcnt 0x0
	s_or_b32 exec_lo, exec_lo, s1
	s_delay_alu instid0(VALU_DEP_1)
	v_readfirstlane_b32 s1, v3
	s_cmp_eq_u32 s1, 0
	s_cbranch_scc1 .LBB2_236
; %bb.235:                              ;   in Loop: Header=BB2_237 Depth=1
	s_sleep 1
	s_cbranch_execnz .LBB2_237
	s_branch .LBB2_239
.LBB2_236:
	s_branch .LBB2_239
.LBB2_237:                              ; =>This Inner Loop Header: Depth=1
	v_mov_b32_e32 v3, 1
	s_and_saveexec_b32 s1, s0
	s_cbranch_execz .LBB2_234
; %bb.238:                              ;   in Loop: Header=BB2_237 Depth=1
	global_load_b32 v3, v[12:13], off offset:20 scope:SCOPE_SYS
	s_wait_loadcnt 0x0
	global_inv scope:SCOPE_SYS
	v_and_b32_e32 v3, 1, v3
	s_branch .LBB2_234
.LBB2_239:
	global_load_b64 v[6:7], v[4:5], off
	s_wait_xcnt 0x0
	s_and_saveexec_b32 s6, s0
	s_cbranch_execz .LBB2_243
; %bb.240:
	v_mov_b32_e32 v3, 0
	s_clause 0x2
	global_load_b64 v[4:5], v3, s[2:3] offset:40
	global_load_b64 v[12:13], v3, s[2:3] offset:24 scope:SCOPE_SYS
	global_load_b64 v[8:9], v3, s[2:3]
	s_wait_loadcnt 0x2
	v_readfirstlane_b32 s10, v4
	v_readfirstlane_b32 s11, v5
	s_add_nc_u64 s[0:1], s[10:11], 1
	s_delay_alu instid0(SALU_CYCLE_1) | instskip(NEXT) | instid1(SALU_CYCLE_1)
	s_add_nc_u64 s[4:5], s[0:1], s[4:5]
	s_cmp_eq_u64 s[4:5], 0
	s_cselect_b32 s1, s1, s5
	s_cselect_b32 s0, s0, s4
	v_mov_b32_e32 v11, s1
	s_and_b64 s[4:5], s[0:1], s[10:11]
	v_mov_b32_e32 v10, s0
	s_mul_u64 s[4:5], s[4:5], 24
	s_wait_loadcnt 0x0
	v_add_nc_u64_e32 v[4:5], s[4:5], v[8:9]
	global_store_b64 v[4:5], v[12:13], off
	global_wb scope:SCOPE_SYS
	s_wait_storecnt 0x0
	s_wait_xcnt 0x0
	global_atomic_cmpswap_b64 v[10:11], v3, v[10:13], s[2:3] offset:24 th:TH_ATOMIC_RETURN scope:SCOPE_SYS
	s_wait_loadcnt 0x0
	v_cmp_ne_u64_e32 vcc_lo, v[10:11], v[12:13]
	s_and_b32 exec_lo, exec_lo, vcc_lo
	s_cbranch_execz .LBB2_243
; %bb.241:
	s_mov_b32 s4, 0
.LBB2_242:                              ; =>This Inner Loop Header: Depth=1
	v_dual_mov_b32 v8, s0 :: v_dual_mov_b32 v9, s1
	s_sleep 1
	global_store_b64 v[4:5], v[10:11], off
	global_wb scope:SCOPE_SYS
	s_wait_storecnt 0x0
	s_wait_xcnt 0x0
	global_atomic_cmpswap_b64 v[8:9], v3, v[8:11], s[2:3] offset:24 th:TH_ATOMIC_RETURN scope:SCOPE_SYS
	s_wait_loadcnt 0x0
	v_cmp_eq_u64_e32 vcc_lo, v[8:9], v[10:11]
	v_mov_b64_e32 v[10:11], v[8:9]
	s_or_b32 s4, vcc_lo, s4
	s_delay_alu instid0(SALU_CYCLE_1)
	s_and_not1_b32 exec_lo, exec_lo, s4
	s_cbranch_execnz .LBB2_242
.LBB2_243:
	s_or_b32 exec_lo, exec_lo, s6
.LBB2_244:
	v_readfirstlane_b32 s0, v1
	s_wait_loadcnt 0x0
	v_mov_b64_e32 v[4:5], 0
	s_delay_alu instid0(VALU_DEP_2)
	v_cmp_eq_u32_e64 s0, s0, v1
	s_and_saveexec_b32 s1, s0
	s_cbranch_execz .LBB2_250
; %bb.245:
	v_mov_b32_e32 v1, 0
	s_mov_b32 s4, exec_lo
	global_load_b64 v[10:11], v1, s[2:3] offset:24 scope:SCOPE_SYS
	s_wait_loadcnt 0x0
	global_inv scope:SCOPE_SYS
	s_clause 0x1
	global_load_b64 v[4:5], v1, s[2:3] offset:40
	global_load_b64 v[8:9], v1, s[2:3]
	s_wait_loadcnt 0x1
	v_and_b32_e32 v4, v4, v10
	v_and_b32_e32 v5, v5, v11
	s_delay_alu instid0(VALU_DEP_1) | instskip(SKIP_1) | instid1(VALU_DEP_1)
	v_mul_u64_e32 v[4:5], 24, v[4:5]
	s_wait_loadcnt 0x0
	v_add_nc_u64_e32 v[4:5], v[8:9], v[4:5]
	global_load_b64 v[8:9], v[4:5], off scope:SCOPE_SYS
	s_wait_xcnt 0x0
	s_wait_loadcnt 0x0
	global_atomic_cmpswap_b64 v[4:5], v1, v[8:11], s[2:3] offset:24 th:TH_ATOMIC_RETURN scope:SCOPE_SYS
	s_wait_loadcnt 0x0
	global_inv scope:SCOPE_SYS
	s_wait_xcnt 0x0
	v_cmpx_ne_u64_e64 v[4:5], v[10:11]
	s_cbranch_execz .LBB2_249
; %bb.246:
	s_mov_b32 s5, 0
.LBB2_247:                              ; =>This Inner Loop Header: Depth=1
	s_sleep 1
	s_clause 0x1
	global_load_b64 v[8:9], v1, s[2:3] offset:40
	global_load_b64 v[12:13], v1, s[2:3]
	v_mov_b64_e32 v[10:11], v[4:5]
	s_wait_loadcnt 0x1
	s_delay_alu instid0(VALU_DEP_1) | instskip(SKIP_1) | instid1(VALU_DEP_1)
	v_and_b32_e32 v3, v8, v10
	s_wait_loadcnt 0x0
	v_mad_nc_u64_u32 v[4:5], v3, 24, v[12:13]
	s_delay_alu instid0(VALU_DEP_3) | instskip(NEXT) | instid1(VALU_DEP_1)
	v_and_b32_e32 v3, v9, v11
	v_mad_u32 v5, v3, 24, v5
	global_load_b64 v[8:9], v[4:5], off scope:SCOPE_SYS
	s_wait_xcnt 0x0
	s_wait_loadcnt 0x0
	global_atomic_cmpswap_b64 v[4:5], v1, v[8:11], s[2:3] offset:24 th:TH_ATOMIC_RETURN scope:SCOPE_SYS
	s_wait_loadcnt 0x0
	global_inv scope:SCOPE_SYS
	v_cmp_eq_u64_e32 vcc_lo, v[4:5], v[10:11]
	s_or_b32 s5, vcc_lo, s5
	s_wait_xcnt 0x0
	s_and_not1_b32 exec_lo, exec_lo, s5
	s_cbranch_execnz .LBB2_247
; %bb.248:
	s_or_b32 exec_lo, exec_lo, s5
.LBB2_249:
	s_delay_alu instid0(SALU_CYCLE_1)
	s_or_b32 exec_lo, exec_lo, s4
.LBB2_250:
	s_delay_alu instid0(SALU_CYCLE_1)
	s_or_b32 exec_lo, exec_lo, s1
	v_readfirstlane_b32 s4, v4
	v_mov_b32_e32 v3, 0
	v_readfirstlane_b32 s5, v5
	s_mov_b32 s1, exec_lo
	s_clause 0x1
	global_load_b64 v[8:9], v3, s[2:3] offset:40
	global_load_b128 v[10:13], v3, s[2:3]
	s_wait_loadcnt 0x1
	v_and_b32_e32 v4, s4, v8
	v_and_b32_e32 v5, s5, v9
	s_delay_alu instid0(VALU_DEP_1) | instskip(SKIP_1) | instid1(VALU_DEP_1)
	v_mul_u64_e32 v[8:9], 24, v[4:5]
	s_wait_loadcnt 0x0
	v_add_nc_u64_e32 v[14:15], v[10:11], v[8:9]
	s_wait_xcnt 0x0
	s_and_saveexec_b32 s6, s0
	s_cbranch_execz .LBB2_252
; %bb.251:
	v_mov_b64_e32 v[18:19], 0x100000002
	v_dual_mov_b32 v16, s1 :: v_dual_mov_b32 v17, v3
	global_store_b128 v[14:15], v[16:19], off offset:8
.LBB2_252:
	s_wait_xcnt 0x0
	s_or_b32 exec_lo, exec_lo, s6
	v_lshlrev_b64_e32 v[4:5], 12, v[4:5]
	s_mov_b32 s12, 0
	v_and_or_b32 v6, 0xffffff1f, v6, 32
	s_mov_b32 s14, s12
	s_mov_b32 s15, s12
	;; [unrolled: 1-line block ×3, first 2 shown]
	v_mov_b64_e32 v[18:19], s[14:15]
	v_add_nc_u64_e32 v[12:13], v[12:13], v[4:5]
	v_mov_b64_e32 v[16:17], s[12:13]
	v_dual_mov_b32 v8, v0 :: v_dual_mov_b32 v9, v3
	s_delay_alu instid0(VALU_DEP_3) | instskip(NEXT) | instid1(VALU_DEP_4)
	v_readfirstlane_b32 s6, v12
	v_readfirstlane_b32 s7, v13
	s_clause 0x3
	global_store_b128 v2, v[6:9], s[6:7]
	global_store_b128 v2, v[16:19], s[6:7] offset:16
	global_store_b128 v2, v[16:19], s[6:7] offset:32
	;; [unrolled: 1-line block ×3, first 2 shown]
	s_wait_xcnt 0x0
	s_and_saveexec_b32 s1, s0
	s_cbranch_execz .LBB2_260
; %bb.253:
	v_dual_mov_b32 v8, 0 :: v_dual_mov_b32 v17, s5
	s_mov_b32 s6, exec_lo
	s_clause 0x1
	global_load_b64 v[18:19], v8, s[2:3] offset:32 scope:SCOPE_SYS
	global_load_b64 v[0:1], v8, s[2:3] offset:40
	s_wait_loadcnt 0x0
	v_dual_mov_b32 v16, s4 :: v_dual_bitop2_b32 v1, s5, v1 bitop3:0x40
	v_and_b32_e32 v0, s4, v0
	s_delay_alu instid0(VALU_DEP_1) | instskip(NEXT) | instid1(VALU_DEP_1)
	v_mul_u64_e32 v[0:1], 24, v[0:1]
	v_add_nc_u64_e32 v[0:1], v[10:11], v[0:1]
	global_store_b64 v[0:1], v[18:19], off
	global_wb scope:SCOPE_SYS
	s_wait_storecnt 0x0
	s_wait_xcnt 0x0
	global_atomic_cmpswap_b64 v[6:7], v8, v[16:19], s[2:3] offset:32 th:TH_ATOMIC_RETURN scope:SCOPE_SYS
	s_wait_loadcnt 0x0
	v_cmpx_ne_u64_e64 v[6:7], v[18:19]
	s_cbranch_execz .LBB2_256
; %bb.254:
	s_mov_b32 s7, 0
.LBB2_255:                              ; =>This Inner Loop Header: Depth=1
	v_dual_mov_b32 v4, s4 :: v_dual_mov_b32 v5, s5
	s_sleep 1
	global_store_b64 v[0:1], v[6:7], off
	global_wb scope:SCOPE_SYS
	s_wait_storecnt 0x0
	s_wait_xcnt 0x0
	global_atomic_cmpswap_b64 v[4:5], v8, v[4:7], s[2:3] offset:32 th:TH_ATOMIC_RETURN scope:SCOPE_SYS
	s_wait_loadcnt 0x0
	v_cmp_eq_u64_e32 vcc_lo, v[4:5], v[6:7]
	v_mov_b64_e32 v[6:7], v[4:5]
	s_or_b32 s7, vcc_lo, s7
	s_delay_alu instid0(SALU_CYCLE_1)
	s_and_not1_b32 exec_lo, exec_lo, s7
	s_cbranch_execnz .LBB2_255
.LBB2_256:
	s_or_b32 exec_lo, exec_lo, s6
	v_mov_b32_e32 v5, 0
	s_mov_b32 s7, exec_lo
	s_mov_b32 s6, exec_lo
	v_mbcnt_lo_u32_b32 v4, s7, 0
	global_load_b64 v[0:1], v5, s[2:3] offset:16
	s_wait_xcnt 0x0
	v_cmpx_eq_u32_e32 0, v4
	s_cbranch_execz .LBB2_258
; %bb.257:
	s_bcnt1_i32_b32 s7, s7
	s_delay_alu instid0(SALU_CYCLE_1)
	v_mov_b32_e32 v4, s7
	global_wb scope:SCOPE_SYS
	s_wait_loadcnt 0x0
	s_wait_storecnt 0x0
	global_atomic_add_u64 v[0:1], v[4:5], off offset:8 scope:SCOPE_SYS
.LBB2_258:
	s_wait_xcnt 0x0
	s_or_b32 exec_lo, exec_lo, s6
	s_wait_loadcnt 0x0
	global_load_b64 v[4:5], v[0:1], off offset:16
	s_wait_loadcnt 0x0
	v_cmp_eq_u64_e32 vcc_lo, 0, v[4:5]
	s_cbranch_vccnz .LBB2_260
; %bb.259:
	global_load_b32 v0, v[0:1], off offset:24
	s_wait_xcnt 0x0
	v_mov_b32_e32 v1, 0
	s_wait_loadcnt 0x0
	v_readfirstlane_b32 s6, v0
	global_wb scope:SCOPE_SYS
	s_wait_storecnt 0x0
	global_store_b64 v[4:5], v[0:1], off scope:SCOPE_SYS
	s_and_b32 m0, s6, 0xffffff
	s_sendmsg sendmsg(MSG_INTERRUPT)
.LBB2_260:
	s_wait_xcnt 0x0
	s_or_b32 exec_lo, exec_lo, s1
	v_add_nc_u64_e32 v[0:1], v[12:13], v[2:3]
	s_branch .LBB2_264
.LBB2_261:                              ;   in Loop: Header=BB2_264 Depth=1
	s_wait_xcnt 0x0
	s_or_b32 exec_lo, exec_lo, s1
	s_delay_alu instid0(VALU_DEP_1)
	v_readfirstlane_b32 s1, v2
	s_cmp_eq_u32 s1, 0
	s_cbranch_scc1 .LBB2_263
; %bb.262:                              ;   in Loop: Header=BB2_264 Depth=1
	s_sleep 1
	s_cbranch_execnz .LBB2_264
	s_branch .LBB2_266
.LBB2_263:
	s_branch .LBB2_266
.LBB2_264:                              ; =>This Inner Loop Header: Depth=1
	v_mov_b32_e32 v2, 1
	s_and_saveexec_b32 s1, s0
	s_cbranch_execz .LBB2_261
; %bb.265:                              ;   in Loop: Header=BB2_264 Depth=1
	global_load_b32 v2, v[14:15], off offset:20 scope:SCOPE_SYS
	s_wait_loadcnt 0x0
	global_inv scope:SCOPE_SYS
	v_and_b32_e32 v2, 1, v2
	s_branch .LBB2_261
.LBB2_266:
	global_load_b64 v[0:1], v[0:1], off
	s_wait_xcnt 0x0
	s_and_saveexec_b32 s6, s0
	s_cbranch_execz .LBB2_270
; %bb.267:
	v_mov_b32_e32 v8, 0
	s_clause 0x2
	global_load_b64 v[2:3], v8, s[2:3] offset:40
	global_load_b64 v[12:13], v8, s[2:3] offset:24 scope:SCOPE_SYS
	global_load_b64 v[4:5], v8, s[2:3]
	s_wait_loadcnt 0x2
	v_readfirstlane_b32 s10, v2
	v_readfirstlane_b32 s11, v3
	s_add_nc_u64 s[0:1], s[10:11], 1
	s_delay_alu instid0(SALU_CYCLE_1) | instskip(NEXT) | instid1(SALU_CYCLE_1)
	s_add_nc_u64 s[4:5], s[0:1], s[4:5]
	s_cmp_eq_u64 s[4:5], 0
	s_cselect_b32 s1, s1, s5
	s_cselect_b32 s0, s0, s4
	v_mov_b32_e32 v11, s1
	s_and_b64 s[4:5], s[0:1], s[10:11]
	v_mov_b32_e32 v10, s0
	s_mul_u64 s[4:5], s[4:5], 24
	s_wait_loadcnt 0x0
	v_add_nc_u64_e32 v[6:7], s[4:5], v[4:5]
	global_store_b64 v[6:7], v[12:13], off
	global_wb scope:SCOPE_SYS
	s_wait_storecnt 0x0
	s_wait_xcnt 0x0
	global_atomic_cmpswap_b64 v[4:5], v8, v[10:13], s[2:3] offset:24 th:TH_ATOMIC_RETURN scope:SCOPE_SYS
	s_wait_loadcnt 0x0
	v_cmp_ne_u64_e32 vcc_lo, v[4:5], v[12:13]
	s_and_b32 exec_lo, exec_lo, vcc_lo
	s_cbranch_execz .LBB2_270
; %bb.268:
	s_mov_b32 s4, 0
.LBB2_269:                              ; =>This Inner Loop Header: Depth=1
	v_dual_mov_b32 v2, s0 :: v_dual_mov_b32 v3, s1
	s_sleep 1
	global_store_b64 v[6:7], v[4:5], off
	global_wb scope:SCOPE_SYS
	s_wait_storecnt 0x0
	s_wait_xcnt 0x0
	global_atomic_cmpswap_b64 v[2:3], v8, v[2:5], s[2:3] offset:24 th:TH_ATOMIC_RETURN scope:SCOPE_SYS
	s_wait_loadcnt 0x0
	v_cmp_eq_u64_e32 vcc_lo, v[2:3], v[4:5]
	v_mov_b64_e32 v[4:5], v[2:3]
	s_or_b32 s4, vcc_lo, s4
	s_delay_alu instid0(SALU_CYCLE_1)
	s_and_not1_b32 exec_lo, exec_lo, s4
	s_cbranch_execnz .LBB2_269
.LBB2_270:
	s_or_b32 exec_lo, exec_lo, s6
	s_get_pc_i64 s[0:1]
	s_add_nc_u64 s[0:1], s[0:1], __FUNCTION__._ZL18flash_attn_ext_f16ILi64ELi64ELi32ELi1ELb0ELb0EEvPKcS1_S1_S1_S1_PKiPfP15HIP_vector_typeIfLj2EEffffjfiS5_IjLj3EEiiiiiiiiiiiliiliiiiil@rel64+4
	s_get_pc_i64 s[2:3]
	s_add_nc_u64 s[2:3], s[2:3], __ockl_printf_append_string_n@rel64+4
	s_cmp_lg_u64 s[0:1], 0
	v_dual_mov_b32 v2, s0 :: v_dual_mov_b32 v3, s1
	s_cselect_b32 s4, 19, 0
	s_delay_alu instid0(SALU_CYCLE_1)
	v_dual_mov_b32 v5, 0 :: v_dual_mov_b32 v4, s4
	s_mov_b64 s[14:15], s[8:9]
	s_swap_pc_i64 s[30:31], s[2:3]
	v_dual_mov_b32 v2, 0x514 :: v_dual_mov_b32 v3, 0
	v_mov_b32_e32 v4, 1
	s_get_pc_i64 s[0:1]
	s_add_nc_u64 s[0:1], s[0:1], __ockl_printf_append_args@rel64+4
	s_mov_b64 s[8:9], s[14:15]
	s_swap_pc_i64 s[30:31], s[0:1]
	s_trap 2
.Lfunc_end2:
	.size	_ZL14no_device_codePKciS0_iS0_, .Lfunc_end2-_ZL14no_device_codePKciS0_iS0_
                                        ; -- End function
	.set .L_ZL14no_device_codePKciS0_iS0_.num_vgpr, max(36, .L__ockl_printf_append_string_n.num_vgpr, .L__ockl_printf_append_args.num_vgpr)
	.set .L_ZL14no_device_codePKciS0_iS0_.num_agpr, max(0, .L__ockl_printf_append_string_n.num_agpr, .L__ockl_printf_append_args.num_agpr)
	.set .L_ZL14no_device_codePKciS0_iS0_.numbered_sgpr, max(34, .L__ockl_printf_append_string_n.numbered_sgpr, .L__ockl_printf_append_args.numbered_sgpr)
	.set .L_ZL14no_device_codePKciS0_iS0_.num_named_barrier, max(0, .L__ockl_printf_append_string_n.num_named_barrier, .L__ockl_printf_append_args.num_named_barrier)
	.set .L_ZL14no_device_codePKciS0_iS0_.private_seg_size, 16+max(.L__ockl_printf_append_string_n.private_seg_size, .L__ockl_printf_append_args.private_seg_size)
	.set .L_ZL14no_device_codePKciS0_iS0_.uses_vcc, or(1, .L__ockl_printf_append_string_n.uses_vcc, .L__ockl_printf_append_args.uses_vcc)
	.set .L_ZL14no_device_codePKciS0_iS0_.uses_flat_scratch, or(0, .L__ockl_printf_append_string_n.uses_flat_scratch, .L__ockl_printf_append_args.uses_flat_scratch)
	.set .L_ZL14no_device_codePKciS0_iS0_.has_dyn_sized_stack, or(0, .L__ockl_printf_append_string_n.has_dyn_sized_stack, .L__ockl_printf_append_args.has_dyn_sized_stack)
	.set .L_ZL14no_device_codePKciS0_iS0_.has_recursion, or(0, .L__ockl_printf_append_string_n.has_recursion, .L__ockl_printf_append_args.has_recursion)
	.set .L_ZL14no_device_codePKciS0_iS0_.has_indirect_call, or(0, .L__ockl_printf_append_string_n.has_indirect_call, .L__ockl_printf_append_args.has_indirect_call)
	.section	.AMDGPU.csdata,"",@progbits
; Function info:
; codeLenInByte = 11004
; TotalNumSgprs: 36
; NumVgprs: 50
; ScratchSize: 16
; MemoryBound: 0
	.section	.text._ZL18flash_attn_ext_f16ILi64ELi64ELi32ELi1ELb0ELb0EEvPKcS1_S1_S1_S1_PKiPfP15HIP_vector_typeIfLj2EEffffjfiS5_IjLj3EEiiiiiiiiiiiliiliiiiil,"axG",@progbits,_ZL18flash_attn_ext_f16ILi64ELi64ELi32ELi1ELb0ELb0EEvPKcS1_S1_S1_S1_PKiPfP15HIP_vector_typeIfLj2EEffffjfiS5_IjLj3EEiiiiiiiiiiiliiliiiiil,comdat
	.globl	_ZL18flash_attn_ext_f16ILi64ELi64ELi32ELi1ELb0ELb0EEvPKcS1_S1_S1_S1_PKiPfP15HIP_vector_typeIfLj2EEffffjfiS5_IjLj3EEiiiiiiiiiiiliiliiiiil ; -- Begin function _ZL18flash_attn_ext_f16ILi64ELi64ELi32ELi1ELb0ELb0EEvPKcS1_S1_S1_S1_PKiPfP15HIP_vector_typeIfLj2EEffffjfiS5_IjLj3EEiiiiiiiiiiiliiliiiiil
	.p2align	8
	.type	_ZL18flash_attn_ext_f16ILi64ELi64ELi32ELi1ELb0ELb0EEvPKcS1_S1_S1_S1_PKiPfP15HIP_vector_typeIfLj2EEffffjfiS5_IjLj3EEiiiiiiiiiiiliiliiiiil,@function
_ZL18flash_attn_ext_f16ILi64ELi64ELi32ELi1ELb0ELb0EEvPKcS1_S1_S1_S1_PKiPfP15HIP_vector_typeIfLj2EEffffjfiS5_IjLj3EEiiiiiiiiiiiliiliiiiil: ; @_ZL18flash_attn_ext_f16ILi64ELi64ELi32ELi1ELb0ELb0EEvPKcS1_S1_S1_S1_PKiPfP15HIP_vector_typeIfLj2EEffffjfiS5_IjLj3EEiiiiiiiiiiiliiliiiiil
; %bb.0:
	v_mov_b32_e32 v0, 0x6e3
	s_add_nc_u64 s[8:9], s[0:1], 0xd0
	s_get_pc_i64 s[0:1]
	s_add_nc_u64 s[0:1], s[0:1], _ZL14no_device_codePKciS0_iS0_@rel64+4
	s_mov_b32 s32, 0
	s_swap_pc_i64 s[30:31], s[0:1]
	.section	.rodata,"a",@progbits
	.p2align	6, 0x0
	.amdhsa_kernel _ZL18flash_attn_ext_f16ILi64ELi64ELi32ELi1ELb0ELb0EEvPKcS1_S1_S1_S1_PKiPfP15HIP_vector_typeIfLj2EEffffjfiS5_IjLj3EEiiiiiiiiiiiliiliiiiil
		.amdhsa_group_segment_fixed_size 0
		.amdhsa_private_segment_fixed_size 16
		.amdhsa_kernarg_size 464
		.amdhsa_user_sgpr_count 2
		.amdhsa_user_sgpr_dispatch_ptr 0
		.amdhsa_user_sgpr_queue_ptr 0
		.amdhsa_user_sgpr_kernarg_segment_ptr 1
		.amdhsa_user_sgpr_dispatch_id 0
		.amdhsa_user_sgpr_kernarg_preload_length 0
		.amdhsa_user_sgpr_kernarg_preload_offset 0
		.amdhsa_user_sgpr_private_segment_size 0
		.amdhsa_wavefront_size32 1
		.amdhsa_uses_dynamic_stack 0
		.amdhsa_enable_private_segment 1
		.amdhsa_system_sgpr_workgroup_id_x 1
		.amdhsa_system_sgpr_workgroup_id_y 0
		.amdhsa_system_sgpr_workgroup_id_z 0
		.amdhsa_system_sgpr_workgroup_info 0
		.amdhsa_system_vgpr_workitem_id 0
		.amdhsa_next_free_vgpr 50
		.amdhsa_next_free_sgpr 34
		.amdhsa_named_barrier_count 0
		.amdhsa_reserve_vcc 1
		.amdhsa_float_round_mode_32 0
		.amdhsa_float_round_mode_16_64 0
		.amdhsa_float_denorm_mode_32 3
		.amdhsa_float_denorm_mode_16_64 3
		.amdhsa_fp16_overflow 0
		.amdhsa_memory_ordered 1
		.amdhsa_forward_progress 1
		.amdhsa_inst_pref_size 1
		.amdhsa_round_robin_scheduling 0
		.amdhsa_exception_fp_ieee_invalid_op 0
		.amdhsa_exception_fp_denorm_src 0
		.amdhsa_exception_fp_ieee_div_zero 0
		.amdhsa_exception_fp_ieee_overflow 0
		.amdhsa_exception_fp_ieee_underflow 0
		.amdhsa_exception_fp_ieee_inexact 0
		.amdhsa_exception_int_div_zero 0
	.end_amdhsa_kernel
	.section	.text._ZL18flash_attn_ext_f16ILi64ELi64ELi32ELi1ELb0ELb0EEvPKcS1_S1_S1_S1_PKiPfP15HIP_vector_typeIfLj2EEffffjfiS5_IjLj3EEiiiiiiiiiiiliiliiiiil,"axG",@progbits,_ZL18flash_attn_ext_f16ILi64ELi64ELi32ELi1ELb0ELb0EEvPKcS1_S1_S1_S1_PKiPfP15HIP_vector_typeIfLj2EEffffjfiS5_IjLj3EEiiiiiiiiiiiliiliiiiil,comdat
.Lfunc_end3:
	.size	_ZL18flash_attn_ext_f16ILi64ELi64ELi32ELi1ELb0ELb0EEvPKcS1_S1_S1_S1_PKiPfP15HIP_vector_typeIfLj2EEffffjfiS5_IjLj3EEiiiiiiiiiiiliiliiiiil, .Lfunc_end3-_ZL18flash_attn_ext_f16ILi64ELi64ELi32ELi1ELb0ELb0EEvPKcS1_S1_S1_S1_PKiPfP15HIP_vector_typeIfLj2EEffffjfiS5_IjLj3EEiiiiiiiiiiiliiliiiiil
                                        ; -- End function
	.set _ZL18flash_attn_ext_f16ILi64ELi64ELi32ELi1ELb0ELb0EEvPKcS1_S1_S1_S1_PKiPfP15HIP_vector_typeIfLj2EEffffjfiS5_IjLj3EEiiiiiiiiiiiliiliiiiil.num_vgpr, max(1, .L_ZL14no_device_codePKciS0_iS0_.num_vgpr)
	.set _ZL18flash_attn_ext_f16ILi64ELi64ELi32ELi1ELb0ELb0EEvPKcS1_S1_S1_S1_PKiPfP15HIP_vector_typeIfLj2EEffffjfiS5_IjLj3EEiiiiiiiiiiiliiliiiiil.num_agpr, max(0, .L_ZL14no_device_codePKciS0_iS0_.num_agpr)
	.set _ZL18flash_attn_ext_f16ILi64ELi64ELi32ELi1ELb0ELb0EEvPKcS1_S1_S1_S1_PKiPfP15HIP_vector_typeIfLj2EEffffjfiS5_IjLj3EEiiiiiiiiiiiliiliiiiil.numbered_sgpr, max(33, .L_ZL14no_device_codePKciS0_iS0_.numbered_sgpr)
	.set _ZL18flash_attn_ext_f16ILi64ELi64ELi32ELi1ELb0ELb0EEvPKcS1_S1_S1_S1_PKiPfP15HIP_vector_typeIfLj2EEffffjfiS5_IjLj3EEiiiiiiiiiiiliiliiiiil.num_named_barrier, max(0, .L_ZL14no_device_codePKciS0_iS0_.num_named_barrier)
	.set _ZL18flash_attn_ext_f16ILi64ELi64ELi32ELi1ELb0ELb0EEvPKcS1_S1_S1_S1_PKiPfP15HIP_vector_typeIfLj2EEffffjfiS5_IjLj3EEiiiiiiiiiiiliiliiiiil.private_seg_size, 0+max(.L_ZL14no_device_codePKciS0_iS0_.private_seg_size)
	.set _ZL18flash_attn_ext_f16ILi64ELi64ELi32ELi1ELb0ELb0EEvPKcS1_S1_S1_S1_PKiPfP15HIP_vector_typeIfLj2EEffffjfiS5_IjLj3EEiiiiiiiiiiiliiliiiiil.uses_vcc, or(1, .L_ZL14no_device_codePKciS0_iS0_.uses_vcc)
	.set _ZL18flash_attn_ext_f16ILi64ELi64ELi32ELi1ELb0ELb0EEvPKcS1_S1_S1_S1_PKiPfP15HIP_vector_typeIfLj2EEffffjfiS5_IjLj3EEiiiiiiiiiiiliiliiiiil.uses_flat_scratch, or(0, .L_ZL14no_device_codePKciS0_iS0_.uses_flat_scratch)
	.set _ZL18flash_attn_ext_f16ILi64ELi64ELi32ELi1ELb0ELb0EEvPKcS1_S1_S1_S1_PKiPfP15HIP_vector_typeIfLj2EEffffjfiS5_IjLj3EEiiiiiiiiiiiliiliiiiil.has_dyn_sized_stack, or(0, .L_ZL14no_device_codePKciS0_iS0_.has_dyn_sized_stack)
	.set _ZL18flash_attn_ext_f16ILi64ELi64ELi32ELi1ELb0ELb0EEvPKcS1_S1_S1_S1_PKiPfP15HIP_vector_typeIfLj2EEffffjfiS5_IjLj3EEiiiiiiiiiiiliiliiiiil.has_recursion, or(0, .L_ZL14no_device_codePKciS0_iS0_.has_recursion)
	.set _ZL18flash_attn_ext_f16ILi64ELi64ELi32ELi1ELb0ELb0EEvPKcS1_S1_S1_S1_PKiPfP15HIP_vector_typeIfLj2EEffffjfiS5_IjLj3EEiiiiiiiiiiiliiliiiiil.has_indirect_call, or(0, .L_ZL14no_device_codePKciS0_iS0_.has_indirect_call)
	.section	.AMDGPU.csdata,"",@progbits
; Kernel info:
; codeLenInByte = 40
; TotalNumSgprs: 36
; NumVgprs: 50
; ScratchSize: 16
; MemoryBound: 0
; FloatMode: 240
; IeeeMode: 1
; LDSByteSize: 0 bytes/workgroup (compile time only)
; SGPRBlocks: 0
; VGPRBlocks: 3
; NumSGPRsForWavesPerEU: 36
; NumVGPRsForWavesPerEU: 50
; NamedBarCnt: 0
; Occupancy: 16
; WaveLimiterHint : 1
; COMPUTE_PGM_RSRC2:SCRATCH_EN: 1
; COMPUTE_PGM_RSRC2:USER_SGPR: 2
; COMPUTE_PGM_RSRC2:TRAP_HANDLER: 0
; COMPUTE_PGM_RSRC2:TGID_X_EN: 1
; COMPUTE_PGM_RSRC2:TGID_Y_EN: 0
; COMPUTE_PGM_RSRC2:TGID_Z_EN: 0
; COMPUTE_PGM_RSRC2:TIDIG_COMP_CNT: 0
	.section	.text._ZL18flash_attn_ext_f16ILi64ELi64ELi32ELi1ELb1ELb0EEvPKcS1_S1_S1_S1_PKiPfP15HIP_vector_typeIfLj2EEffffjfiS5_IjLj3EEiiiiiiiiiiiliiliiiiil,"axG",@progbits,_ZL18flash_attn_ext_f16ILi64ELi64ELi32ELi1ELb1ELb0EEvPKcS1_S1_S1_S1_PKiPfP15HIP_vector_typeIfLj2EEffffjfiS5_IjLj3EEiiiiiiiiiiiliiliiiiil,comdat
	.globl	_ZL18flash_attn_ext_f16ILi64ELi64ELi32ELi1ELb1ELb0EEvPKcS1_S1_S1_S1_PKiPfP15HIP_vector_typeIfLj2EEffffjfiS5_IjLj3EEiiiiiiiiiiiliiliiiiil ; -- Begin function _ZL18flash_attn_ext_f16ILi64ELi64ELi32ELi1ELb1ELb0EEvPKcS1_S1_S1_S1_PKiPfP15HIP_vector_typeIfLj2EEffffjfiS5_IjLj3EEiiiiiiiiiiiliiliiiiil
	.p2align	8
	.type	_ZL18flash_attn_ext_f16ILi64ELi64ELi32ELi1ELb1ELb0EEvPKcS1_S1_S1_S1_PKiPfP15HIP_vector_typeIfLj2EEffffjfiS5_IjLj3EEiiiiiiiiiiiliiliiiiil,@function
_ZL18flash_attn_ext_f16ILi64ELi64ELi32ELi1ELb1ELb0EEvPKcS1_S1_S1_S1_PKiPfP15HIP_vector_typeIfLj2EEffffjfiS5_IjLj3EEiiiiiiiiiiiliiliiiiil: ; @_ZL18flash_attn_ext_f16ILi64ELi64ELi32ELi1ELb1ELb0EEvPKcS1_S1_S1_S1_PKiPfP15HIP_vector_typeIfLj2EEffffjfiS5_IjLj3EEiiiiiiiiiiiliiliiiiil
; %bb.0:
	v_mov_b32_e32 v0, 0x6cc
	s_add_nc_u64 s[8:9], s[0:1], 0xd0
	s_get_pc_i64 s[0:1]
	s_add_nc_u64 s[0:1], s[0:1], _ZL14no_device_codePKciS0_iS0_@rel64+4
	s_mov_b32 s32, 0
	s_swap_pc_i64 s[30:31], s[0:1]
	.section	.rodata,"a",@progbits
	.p2align	6, 0x0
	.amdhsa_kernel _ZL18flash_attn_ext_f16ILi64ELi64ELi32ELi1ELb1ELb0EEvPKcS1_S1_S1_S1_PKiPfP15HIP_vector_typeIfLj2EEffffjfiS5_IjLj3EEiiiiiiiiiiiliiliiiiil
		.amdhsa_group_segment_fixed_size 0
		.amdhsa_private_segment_fixed_size 16
		.amdhsa_kernarg_size 464
		.amdhsa_user_sgpr_count 2
		.amdhsa_user_sgpr_dispatch_ptr 0
		.amdhsa_user_sgpr_queue_ptr 0
		.amdhsa_user_sgpr_kernarg_segment_ptr 1
		.amdhsa_user_sgpr_dispatch_id 0
		.amdhsa_user_sgpr_kernarg_preload_length 0
		.amdhsa_user_sgpr_kernarg_preload_offset 0
		.amdhsa_user_sgpr_private_segment_size 0
		.amdhsa_wavefront_size32 1
		.amdhsa_uses_dynamic_stack 0
		.amdhsa_enable_private_segment 1
		.amdhsa_system_sgpr_workgroup_id_x 1
		.amdhsa_system_sgpr_workgroup_id_y 0
		.amdhsa_system_sgpr_workgroup_id_z 0
		.amdhsa_system_sgpr_workgroup_info 0
		.amdhsa_system_vgpr_workitem_id 0
		.amdhsa_next_free_vgpr 50
		.amdhsa_next_free_sgpr 34
		.amdhsa_named_barrier_count 0
		.amdhsa_reserve_vcc 1
		.amdhsa_float_round_mode_32 0
		.amdhsa_float_round_mode_16_64 0
		.amdhsa_float_denorm_mode_32 3
		.amdhsa_float_denorm_mode_16_64 3
		.amdhsa_fp16_overflow 0
		.amdhsa_memory_ordered 1
		.amdhsa_forward_progress 1
		.amdhsa_inst_pref_size 1
		.amdhsa_round_robin_scheduling 0
		.amdhsa_exception_fp_ieee_invalid_op 0
		.amdhsa_exception_fp_denorm_src 0
		.amdhsa_exception_fp_ieee_div_zero 0
		.amdhsa_exception_fp_ieee_overflow 0
		.amdhsa_exception_fp_ieee_underflow 0
		.amdhsa_exception_fp_ieee_inexact 0
		.amdhsa_exception_int_div_zero 0
	.end_amdhsa_kernel
	.section	.text._ZL18flash_attn_ext_f16ILi64ELi64ELi32ELi1ELb1ELb0EEvPKcS1_S1_S1_S1_PKiPfP15HIP_vector_typeIfLj2EEffffjfiS5_IjLj3EEiiiiiiiiiiiliiliiiiil,"axG",@progbits,_ZL18flash_attn_ext_f16ILi64ELi64ELi32ELi1ELb1ELb0EEvPKcS1_S1_S1_S1_PKiPfP15HIP_vector_typeIfLj2EEffffjfiS5_IjLj3EEiiiiiiiiiiiliiliiiiil,comdat
.Lfunc_end4:
	.size	_ZL18flash_attn_ext_f16ILi64ELi64ELi32ELi1ELb1ELb0EEvPKcS1_S1_S1_S1_PKiPfP15HIP_vector_typeIfLj2EEffffjfiS5_IjLj3EEiiiiiiiiiiiliiliiiiil, .Lfunc_end4-_ZL18flash_attn_ext_f16ILi64ELi64ELi32ELi1ELb1ELb0EEvPKcS1_S1_S1_S1_PKiPfP15HIP_vector_typeIfLj2EEffffjfiS5_IjLj3EEiiiiiiiiiiiliiliiiiil
                                        ; -- End function
	.set _ZL18flash_attn_ext_f16ILi64ELi64ELi32ELi1ELb1ELb0EEvPKcS1_S1_S1_S1_PKiPfP15HIP_vector_typeIfLj2EEffffjfiS5_IjLj3EEiiiiiiiiiiiliiliiiiil.num_vgpr, max(1, .L_ZL14no_device_codePKciS0_iS0_.num_vgpr)
	.set _ZL18flash_attn_ext_f16ILi64ELi64ELi32ELi1ELb1ELb0EEvPKcS1_S1_S1_S1_PKiPfP15HIP_vector_typeIfLj2EEffffjfiS5_IjLj3EEiiiiiiiiiiiliiliiiiil.num_agpr, max(0, .L_ZL14no_device_codePKciS0_iS0_.num_agpr)
	.set _ZL18flash_attn_ext_f16ILi64ELi64ELi32ELi1ELb1ELb0EEvPKcS1_S1_S1_S1_PKiPfP15HIP_vector_typeIfLj2EEffffjfiS5_IjLj3EEiiiiiiiiiiiliiliiiiil.numbered_sgpr, max(33, .L_ZL14no_device_codePKciS0_iS0_.numbered_sgpr)
	.set _ZL18flash_attn_ext_f16ILi64ELi64ELi32ELi1ELb1ELb0EEvPKcS1_S1_S1_S1_PKiPfP15HIP_vector_typeIfLj2EEffffjfiS5_IjLj3EEiiiiiiiiiiiliiliiiiil.num_named_barrier, max(0, .L_ZL14no_device_codePKciS0_iS0_.num_named_barrier)
	.set _ZL18flash_attn_ext_f16ILi64ELi64ELi32ELi1ELb1ELb0EEvPKcS1_S1_S1_S1_PKiPfP15HIP_vector_typeIfLj2EEffffjfiS5_IjLj3EEiiiiiiiiiiiliiliiiiil.private_seg_size, 0+max(.L_ZL14no_device_codePKciS0_iS0_.private_seg_size)
	.set _ZL18flash_attn_ext_f16ILi64ELi64ELi32ELi1ELb1ELb0EEvPKcS1_S1_S1_S1_PKiPfP15HIP_vector_typeIfLj2EEffffjfiS5_IjLj3EEiiiiiiiiiiiliiliiiiil.uses_vcc, or(1, .L_ZL14no_device_codePKciS0_iS0_.uses_vcc)
	.set _ZL18flash_attn_ext_f16ILi64ELi64ELi32ELi1ELb1ELb0EEvPKcS1_S1_S1_S1_PKiPfP15HIP_vector_typeIfLj2EEffffjfiS5_IjLj3EEiiiiiiiiiiiliiliiiiil.uses_flat_scratch, or(0, .L_ZL14no_device_codePKciS0_iS0_.uses_flat_scratch)
	.set _ZL18flash_attn_ext_f16ILi64ELi64ELi32ELi1ELb1ELb0EEvPKcS1_S1_S1_S1_PKiPfP15HIP_vector_typeIfLj2EEffffjfiS5_IjLj3EEiiiiiiiiiiiliiliiiiil.has_dyn_sized_stack, or(0, .L_ZL14no_device_codePKciS0_iS0_.has_dyn_sized_stack)
	.set _ZL18flash_attn_ext_f16ILi64ELi64ELi32ELi1ELb1ELb0EEvPKcS1_S1_S1_S1_PKiPfP15HIP_vector_typeIfLj2EEffffjfiS5_IjLj3EEiiiiiiiiiiiliiliiiiil.has_recursion, or(0, .L_ZL14no_device_codePKciS0_iS0_.has_recursion)
	.set _ZL18flash_attn_ext_f16ILi64ELi64ELi32ELi1ELb1ELb0EEvPKcS1_S1_S1_S1_PKiPfP15HIP_vector_typeIfLj2EEffffjfiS5_IjLj3EEiiiiiiiiiiiliiliiiiil.has_indirect_call, or(0, .L_ZL14no_device_codePKciS0_iS0_.has_indirect_call)
	.section	.AMDGPU.csdata,"",@progbits
; Kernel info:
; codeLenInByte = 40
; TotalNumSgprs: 36
; NumVgprs: 50
; ScratchSize: 16
; MemoryBound: 0
; FloatMode: 240
; IeeeMode: 1
; LDSByteSize: 0 bytes/workgroup (compile time only)
; SGPRBlocks: 0
; VGPRBlocks: 3
; NumSGPRsForWavesPerEU: 36
; NumVGPRsForWavesPerEU: 50
; NamedBarCnt: 0
; Occupancy: 16
; WaveLimiterHint : 1
; COMPUTE_PGM_RSRC2:SCRATCH_EN: 1
; COMPUTE_PGM_RSRC2:USER_SGPR: 2
; COMPUTE_PGM_RSRC2:TRAP_HANDLER: 0
; COMPUTE_PGM_RSRC2:TGID_X_EN: 1
; COMPUTE_PGM_RSRC2:TGID_Y_EN: 0
; COMPUTE_PGM_RSRC2:TGID_Z_EN: 0
; COMPUTE_PGM_RSRC2:TIDIG_COMP_CNT: 0
	.section	.text._ZL25flash_attn_mask_to_KV_maxILi32EEvPK7__half2Piiii,"axG",@progbits,_ZL25flash_attn_mask_to_KV_maxILi32EEvPK7__half2Piiii,comdat
	.globl	_ZL25flash_attn_mask_to_KV_maxILi32EEvPK7__half2Piiii ; -- Begin function _ZL25flash_attn_mask_to_KV_maxILi32EEvPK7__half2Piiii
	.p2align	8
	.type	_ZL25flash_attn_mask_to_KV_maxILi32EEvPK7__half2Piiii,@function
_ZL25flash_attn_mask_to_KV_maxILi32EEvPK7__half2Piiii: ; @_ZL25flash_attn_mask_to_KV_maxILi32EEvPK7__half2Piiii
; %bb.0:
	s_load_b128 s[4:7], s[0:1], 0x0
	s_mov_b32 s2, exec_lo
	v_cmpx_gt_u32_e32 32, v0
; %bb.1:
	v_dual_mov_b32 v2, 1 :: v_dual_lshlrev_b32 v1, 2, v0
	ds_store_b32 v1, v2
; %bb.2:
	s_or_b32 exec_lo, exec_lo, s2
	s_clause 0x1
	s_load_b96 s[8:10], s[0:1], 0x10
	s_load_b32 s11, s[0:1], 0x20
	s_wait_xcnt 0x0
	s_bfe_u32 s1, ttmp6, 0x4000c
	s_bfe_u32 s2, ttmp6, 0x40010
	s_add_co_i32 s1, s1, 1
	s_add_co_i32 s2, s2, 1
	s_and_b32 s0, ttmp6, 15
	s_bfe_u32 s3, ttmp6, 0x40004
	s_mul_i32 s1, ttmp9, s1
	s_mul_i32 s2, ttmp7, s2
	s_getreg_b32 s12, hwreg(HW_REG_IB_STS2, 6, 4)
	s_add_co_i32 s0, s0, s1
	s_add_co_i32 s3, s3, s2
	s_cmp_eq_u32 s12, 0
	v_dual_lshrrev_b32 v1, 3, v0 :: v_dual_bitop2_b32 v2, 31, v0 bitop3:0x40
	s_cselect_b32 s1, ttmp9, s0
	s_cselect_b32 s12, ttmp7, s3
	s_wait_dscnt 0x0
	s_barrier_signal -1
	s_wait_kmcnt 0x0
	s_mul_i32 s0, s1, s9
	s_mul_i32 s2, s10, s12
	s_lshl_b32 s0, s0, 5
	s_barrier_wait -1
	s_add_co_i32 s2, s2, s0
	v_cmp_eq_u32_e64 s0, 0, v2
	s_ashr_i32 s3, s2, 31
	v_lshlrev_b32_e32 v2, 2, v2
	s_lshl_b64 s[2:3], s[2:3], 2
	s_delay_alu instid0(SALU_CYCLE_1)
	s_add_nc_u64 s[2:3], s[4:5], s[2:3]
	s_lshl_b32 s5, s8, 8
	s_branch .LBB5_4
.LBB5_3:                                ;   in Loop: Header=BB5_4 Depth=1
	s_or_b32 exec_lo, exec_lo, s8
	s_wait_dscnt 0x0
	s_barrier_signal -1
	s_barrier_wait -1
	ds_load_b32 v3, v2
	s_wait_dscnt 0x0
	s_barrier_signal -1
	s_barrier_wait -1
	v_cmp_ne_u32_e32 vcc_lo, 0, v3
	s_cmp_lg_u32 vcc_lo, exec_lo
	s_cselect_b32 s8, -1, 0
	s_delay_alu instid0(SALU_CYCLE_1)
	s_and_b32 vcc_lo, exec_lo, s8
	s_cbranch_vccnz .LBB5_132
.LBB5_4:                                ; =>This Inner Loop Header: Depth=1
	s_mov_b32 s4, s5
	s_addk_co_i32 s5, 0xff00
	s_delay_alu instid0(SALU_CYCLE_1)
	s_cmp_lt_i32 s5, 0
	s_cbranch_scc1 .LBB5_131
; %bb.5:                                ;   in Loop: Header=BB5_4 Depth=1
	s_lshr_b32 s8, s5, 1
	s_delay_alu instid0(SALU_CYCLE_1) | instskip(SKIP_4) | instid1(VALU_DEP_2)
	v_add_nc_u32_e32 v3, s8, v0
	global_load_b32 v4, v3, s[2:3] scale_offset
	s_wait_loadcnt 0x0
	v_lshrrev_b32_e32 v5, 16, v4
	v_cmp_class_f16_e64 s8, v4, 0x204
	v_cmp_class_f16_e64 s10, v5, 0x204
	s_and_b32 s13, s8, s10
	s_mov_b32 s10, 0
	s_and_saveexec_b32 s8, s13
	s_cbranch_execz .LBB5_129
; %bb.6:                                ;   in Loop: Header=BB5_4 Depth=1
	v_add_nc_u32_e32 v3, s9, v3
	s_mov_b32 s13, 0
	global_load_b32 v4, v3, s[2:3] scale_offset
	s_wait_loadcnt 0x0
	v_cmp_class_f16_e64 s14, v4, 0x204
	s_and_saveexec_b32 s10, s14
	s_cbranch_execz .LBB5_128
; %bb.7:                                ;   in Loop: Header=BB5_4 Depth=1
	v_lshrrev_b32_e32 v4, 16, v4
	s_mov_b32 s14, 0
	s_delay_alu instid0(VALU_DEP_1)
	v_cmp_class_f16_e64 s15, v4, 0x204
	s_and_saveexec_b32 s13, s15
	s_cbranch_execz .LBB5_127
; %bb.8:                                ;   in Loop: Header=BB5_4 Depth=1
	v_add_nc_u32_e32 v3, s9, v3
	s_mov_b32 s15, 0
	global_load_b32 v4, v3, s[2:3] scale_offset
	s_wait_loadcnt 0x0
	v_cmp_class_f16_e64 s16, v4, 0x204
	s_and_saveexec_b32 s14, s16
	s_cbranch_execz .LBB5_126
; %bb.9:                                ;   in Loop: Header=BB5_4 Depth=1
	v_lshrrev_b32_e32 v4, 16, v4
	s_mov_b32 s16, 0
	s_delay_alu instid0(VALU_DEP_1)
	v_cmp_class_f16_e64 s17, v4, 0x204
	s_and_saveexec_b32 s15, s17
	s_cbranch_execz .LBB5_125
; %bb.10:                               ;   in Loop: Header=BB5_4 Depth=1
	v_add_nc_u32_e32 v3, s9, v3
	s_mov_b32 s17, 0
	global_load_b32 v4, v3, s[2:3] scale_offset
	s_wait_loadcnt 0x0
	v_cmp_class_f16_e64 s18, v4, 0x204
	s_and_saveexec_b32 s16, s18
	s_cbranch_execz .LBB5_124
; %bb.11:                               ;   in Loop: Header=BB5_4 Depth=1
	v_lshrrev_b32_e32 v4, 16, v4
	s_mov_b32 s18, 0
	s_delay_alu instid0(VALU_DEP_1)
	v_cmp_class_f16_e64 s19, v4, 0x204
	s_and_saveexec_b32 s17, s19
	s_cbranch_execz .LBB5_123
; %bb.12:                               ;   in Loop: Header=BB5_4 Depth=1
	v_add_nc_u32_e32 v3, s9, v3
	s_mov_b32 s19, 0
	global_load_b32 v4, v3, s[2:3] scale_offset
	s_wait_loadcnt 0x0
	v_cmp_class_f16_e64 s20, v4, 0x204
	s_and_saveexec_b32 s18, s20
	s_cbranch_execz .LBB5_122
; %bb.13:                               ;   in Loop: Header=BB5_4 Depth=1
	;; [unrolled: 15-line block ×28, first 2 shown]
	v_lshrrev_b32_e32 v4, 16, v4
	s_mov_b32 s73, 0
	s_delay_alu instid0(VALU_DEP_1)
	v_cmp_class_f16_e64 s74, v4, 0x204
	s_and_saveexec_b32 s72, s74
	s_cbranch_execz .LBB5_69
; %bb.66:                               ;   in Loop: Header=BB5_4 Depth=1
	v_add_nc_u32_e32 v3, s9, v3
	global_load_b32 v3, v3, s[2:3] scale_offset
	s_wait_loadcnt 0x0
	v_cmp_class_f16_e64 s75, v3, 0x204
	s_and_saveexec_b32 s74, s75
; %bb.67:                               ;   in Loop: Header=BB5_4 Depth=1
	v_lshrrev_b32_e32 v3, 16, v3
	s_delay_alu instid0(VALU_DEP_1)
	v_cmp_class_f16_e64 s73, v3, 0x204
	s_and_b32 s73, s73, exec_lo
; %bb.68:                               ;   in Loop: Header=BB5_4 Depth=1
	s_or_b32 exec_lo, exec_lo, s74
	s_delay_alu instid0(SALU_CYCLE_1)
	s_and_b32 s73, s73, exec_lo
.LBB5_69:                               ;   in Loop: Header=BB5_4 Depth=1
	s_or_b32 exec_lo, exec_lo, s72
	s_delay_alu instid0(SALU_CYCLE_1)
	s_and_b32 s72, s73, exec_lo
.LBB5_70:                               ;   in Loop: Header=BB5_4 Depth=1
	s_or_b32 exec_lo, exec_lo, s71
	s_delay_alu instid0(SALU_CYCLE_1)
	s_and_b32 s71, s72, exec_lo
.LBB5_71:                               ;   in Loop: Header=BB5_4 Depth=1
	s_or_b32 exec_lo, exec_lo, s70
	s_delay_alu instid0(SALU_CYCLE_1)
	s_and_b32 s70, s71, exec_lo
.LBB5_72:                               ;   in Loop: Header=BB5_4 Depth=1
	s_or_b32 exec_lo, exec_lo, s69
	s_delay_alu instid0(SALU_CYCLE_1)
	s_and_b32 s69, s70, exec_lo
.LBB5_73:                               ;   in Loop: Header=BB5_4 Depth=1
	s_or_b32 exec_lo, exec_lo, s68
	s_delay_alu instid0(SALU_CYCLE_1)
	s_and_b32 s68, s69, exec_lo
.LBB5_74:                               ;   in Loop: Header=BB5_4 Depth=1
	s_or_b32 exec_lo, exec_lo, s67
	s_delay_alu instid0(SALU_CYCLE_1)
	s_and_b32 s67, s68, exec_lo
.LBB5_75:                               ;   in Loop: Header=BB5_4 Depth=1
	s_or_b32 exec_lo, exec_lo, s66
	s_delay_alu instid0(SALU_CYCLE_1)
	s_and_b32 s66, s67, exec_lo
.LBB5_76:                               ;   in Loop: Header=BB5_4 Depth=1
	s_or_b32 exec_lo, exec_lo, s65
	s_delay_alu instid0(SALU_CYCLE_1)
	s_and_b32 s65, s66, exec_lo
.LBB5_77:                               ;   in Loop: Header=BB5_4 Depth=1
	s_or_b32 exec_lo, exec_lo, s64
	s_delay_alu instid0(SALU_CYCLE_1)
	s_and_b32 s64, s65, exec_lo
.LBB5_78:                               ;   in Loop: Header=BB5_4 Depth=1
	s_or_b32 exec_lo, exec_lo, s63
	s_delay_alu instid0(SALU_CYCLE_1)
	s_and_b32 s63, s64, exec_lo
.LBB5_79:                               ;   in Loop: Header=BB5_4 Depth=1
	s_or_b32 exec_lo, exec_lo, s62
	s_delay_alu instid0(SALU_CYCLE_1)
	s_and_b32 s62, s63, exec_lo
.LBB5_80:                               ;   in Loop: Header=BB5_4 Depth=1
	s_or_b32 exec_lo, exec_lo, s61
	s_delay_alu instid0(SALU_CYCLE_1)
	s_and_b32 s61, s62, exec_lo
.LBB5_81:                               ;   in Loop: Header=BB5_4 Depth=1
	s_or_b32 exec_lo, exec_lo, s60
	s_delay_alu instid0(SALU_CYCLE_1)
	s_and_b32 s60, s61, exec_lo
.LBB5_82:                               ;   in Loop: Header=BB5_4 Depth=1
	s_or_b32 exec_lo, exec_lo, s59
	s_delay_alu instid0(SALU_CYCLE_1)
	s_and_b32 s59, s60, exec_lo
.LBB5_83:                               ;   in Loop: Header=BB5_4 Depth=1
	s_or_b32 exec_lo, exec_lo, s58
	s_delay_alu instid0(SALU_CYCLE_1)
	s_and_b32 s58, s59, exec_lo
.LBB5_84:                               ;   in Loop: Header=BB5_4 Depth=1
	s_or_b32 exec_lo, exec_lo, s57
	s_delay_alu instid0(SALU_CYCLE_1)
	s_and_b32 s57, s58, exec_lo
.LBB5_85:                               ;   in Loop: Header=BB5_4 Depth=1
	s_or_b32 exec_lo, exec_lo, s56
	s_delay_alu instid0(SALU_CYCLE_1)
	s_and_b32 s56, s57, exec_lo
.LBB5_86:                               ;   in Loop: Header=BB5_4 Depth=1
	s_or_b32 exec_lo, exec_lo, s55
	s_delay_alu instid0(SALU_CYCLE_1)
	s_and_b32 s55, s56, exec_lo
.LBB5_87:                               ;   in Loop: Header=BB5_4 Depth=1
	s_or_b32 exec_lo, exec_lo, s54
	s_delay_alu instid0(SALU_CYCLE_1)
	s_and_b32 s54, s55, exec_lo
.LBB5_88:                               ;   in Loop: Header=BB5_4 Depth=1
	s_or_b32 exec_lo, exec_lo, s53
	s_delay_alu instid0(SALU_CYCLE_1)
	s_and_b32 s53, s54, exec_lo
.LBB5_89:                               ;   in Loop: Header=BB5_4 Depth=1
	s_or_b32 exec_lo, exec_lo, s52
	s_delay_alu instid0(SALU_CYCLE_1)
	s_and_b32 s52, s53, exec_lo
.LBB5_90:                               ;   in Loop: Header=BB5_4 Depth=1
	s_or_b32 exec_lo, exec_lo, s51
	s_delay_alu instid0(SALU_CYCLE_1)
	s_and_b32 s51, s52, exec_lo
.LBB5_91:                               ;   in Loop: Header=BB5_4 Depth=1
	s_or_b32 exec_lo, exec_lo, s50
	s_delay_alu instid0(SALU_CYCLE_1)
	s_and_b32 s50, s51, exec_lo
.LBB5_92:                               ;   in Loop: Header=BB5_4 Depth=1
	s_or_b32 exec_lo, exec_lo, s49
	s_delay_alu instid0(SALU_CYCLE_1)
	s_and_b32 s49, s50, exec_lo
.LBB5_93:                               ;   in Loop: Header=BB5_4 Depth=1
	s_or_b32 exec_lo, exec_lo, s48
	s_delay_alu instid0(SALU_CYCLE_1)
	s_and_b32 s48, s49, exec_lo
.LBB5_94:                               ;   in Loop: Header=BB5_4 Depth=1
	s_or_b32 exec_lo, exec_lo, s47
	s_delay_alu instid0(SALU_CYCLE_1)
	s_and_b32 s47, s48, exec_lo
.LBB5_95:                               ;   in Loop: Header=BB5_4 Depth=1
	s_or_b32 exec_lo, exec_lo, s46
	s_delay_alu instid0(SALU_CYCLE_1)
	s_and_b32 s46, s47, exec_lo
.LBB5_96:                               ;   in Loop: Header=BB5_4 Depth=1
	s_or_b32 exec_lo, exec_lo, s45
	s_delay_alu instid0(SALU_CYCLE_1)
	s_and_b32 s45, s46, exec_lo
.LBB5_97:                               ;   in Loop: Header=BB5_4 Depth=1
	s_or_b32 exec_lo, exec_lo, s44
	s_delay_alu instid0(SALU_CYCLE_1)
	s_and_b32 s44, s45, exec_lo
.LBB5_98:                               ;   in Loop: Header=BB5_4 Depth=1
	s_or_b32 exec_lo, exec_lo, s43
	s_delay_alu instid0(SALU_CYCLE_1)
	s_and_b32 s43, s44, exec_lo
.LBB5_99:                               ;   in Loop: Header=BB5_4 Depth=1
	s_or_b32 exec_lo, exec_lo, s42
	s_delay_alu instid0(SALU_CYCLE_1)
	s_and_b32 s42, s43, exec_lo
.LBB5_100:                              ;   in Loop: Header=BB5_4 Depth=1
	s_or_b32 exec_lo, exec_lo, s41
	s_delay_alu instid0(SALU_CYCLE_1)
	s_and_b32 s41, s42, exec_lo
.LBB5_101:                              ;   in Loop: Header=BB5_4 Depth=1
	s_or_b32 exec_lo, exec_lo, s40
	s_delay_alu instid0(SALU_CYCLE_1)
	s_and_b32 s40, s41, exec_lo
.LBB5_102:                              ;   in Loop: Header=BB5_4 Depth=1
	s_or_b32 exec_lo, exec_lo, s39
	s_delay_alu instid0(SALU_CYCLE_1)
	s_and_b32 s39, s40, exec_lo
.LBB5_103:                              ;   in Loop: Header=BB5_4 Depth=1
	s_or_b32 exec_lo, exec_lo, s38
	s_delay_alu instid0(SALU_CYCLE_1)
	s_and_b32 s38, s39, exec_lo
.LBB5_104:                              ;   in Loop: Header=BB5_4 Depth=1
	s_or_b32 exec_lo, exec_lo, s37
	s_delay_alu instid0(SALU_CYCLE_1)
	s_and_b32 s37, s38, exec_lo
.LBB5_105:                              ;   in Loop: Header=BB5_4 Depth=1
	s_or_b32 exec_lo, exec_lo, s36
	s_delay_alu instid0(SALU_CYCLE_1)
	s_and_b32 s36, s37, exec_lo
.LBB5_106:                              ;   in Loop: Header=BB5_4 Depth=1
	s_or_b32 exec_lo, exec_lo, s35
	s_delay_alu instid0(SALU_CYCLE_1)
	s_and_b32 s35, s36, exec_lo
.LBB5_107:                              ;   in Loop: Header=BB5_4 Depth=1
	s_or_b32 exec_lo, exec_lo, s34
	s_delay_alu instid0(SALU_CYCLE_1)
	s_and_b32 s34, s35, exec_lo
.LBB5_108:                              ;   in Loop: Header=BB5_4 Depth=1
	s_or_b32 exec_lo, exec_lo, s33
	s_delay_alu instid0(SALU_CYCLE_1)
	s_and_b32 s33, s34, exec_lo
.LBB5_109:                              ;   in Loop: Header=BB5_4 Depth=1
	s_or_b32 exec_lo, exec_lo, s31
	s_delay_alu instid0(SALU_CYCLE_1)
	s_and_b32 s31, s33, exec_lo
.LBB5_110:                              ;   in Loop: Header=BB5_4 Depth=1
	s_or_b32 exec_lo, exec_lo, s30
	s_delay_alu instid0(SALU_CYCLE_1)
	s_and_b32 s30, s31, exec_lo
.LBB5_111:                              ;   in Loop: Header=BB5_4 Depth=1
	s_or_b32 exec_lo, exec_lo, s29
	s_delay_alu instid0(SALU_CYCLE_1)
	s_and_b32 s29, s30, exec_lo
.LBB5_112:                              ;   in Loop: Header=BB5_4 Depth=1
	s_or_b32 exec_lo, exec_lo, s28
	s_delay_alu instid0(SALU_CYCLE_1)
	s_and_b32 s28, s29, exec_lo
.LBB5_113:                              ;   in Loop: Header=BB5_4 Depth=1
	s_or_b32 exec_lo, exec_lo, s27
	s_delay_alu instid0(SALU_CYCLE_1)
	s_and_b32 s27, s28, exec_lo
.LBB5_114:                              ;   in Loop: Header=BB5_4 Depth=1
	s_or_b32 exec_lo, exec_lo, s26
	s_delay_alu instid0(SALU_CYCLE_1)
	s_and_b32 s26, s27, exec_lo
.LBB5_115:                              ;   in Loop: Header=BB5_4 Depth=1
	s_or_b32 exec_lo, exec_lo, s25
	s_delay_alu instid0(SALU_CYCLE_1)
	s_and_b32 s25, s26, exec_lo
.LBB5_116:                              ;   in Loop: Header=BB5_4 Depth=1
	s_or_b32 exec_lo, exec_lo, s24
	s_delay_alu instid0(SALU_CYCLE_1)
	s_and_b32 s24, s25, exec_lo
.LBB5_117:                              ;   in Loop: Header=BB5_4 Depth=1
	s_or_b32 exec_lo, exec_lo, s23
	s_delay_alu instid0(SALU_CYCLE_1)
	s_and_b32 s23, s24, exec_lo
.LBB5_118:                              ;   in Loop: Header=BB5_4 Depth=1
	s_or_b32 exec_lo, exec_lo, s22
	s_delay_alu instid0(SALU_CYCLE_1)
	s_and_b32 s22, s23, exec_lo
.LBB5_119:                              ;   in Loop: Header=BB5_4 Depth=1
	s_or_b32 exec_lo, exec_lo, s21
	s_delay_alu instid0(SALU_CYCLE_1)
	s_and_b32 s21, s22, exec_lo
.LBB5_120:                              ;   in Loop: Header=BB5_4 Depth=1
	s_or_b32 exec_lo, exec_lo, s20
	s_delay_alu instid0(SALU_CYCLE_1)
	s_and_b32 s20, s21, exec_lo
.LBB5_121:                              ;   in Loop: Header=BB5_4 Depth=1
	s_or_b32 exec_lo, exec_lo, s19
	s_delay_alu instid0(SALU_CYCLE_1)
	s_and_b32 s19, s20, exec_lo
.LBB5_122:                              ;   in Loop: Header=BB5_4 Depth=1
	s_or_b32 exec_lo, exec_lo, s18
	s_delay_alu instid0(SALU_CYCLE_1)
	s_and_b32 s18, s19, exec_lo
.LBB5_123:                              ;   in Loop: Header=BB5_4 Depth=1
	s_or_b32 exec_lo, exec_lo, s17
	s_delay_alu instid0(SALU_CYCLE_1)
	s_and_b32 s17, s18, exec_lo
.LBB5_124:                              ;   in Loop: Header=BB5_4 Depth=1
	s_or_b32 exec_lo, exec_lo, s16
	s_delay_alu instid0(SALU_CYCLE_1)
	s_and_b32 s16, s17, exec_lo
.LBB5_125:                              ;   in Loop: Header=BB5_4 Depth=1
	s_or_b32 exec_lo, exec_lo, s15
	s_delay_alu instid0(SALU_CYCLE_1)
	s_and_b32 s15, s16, exec_lo
.LBB5_126:                              ;   in Loop: Header=BB5_4 Depth=1
	s_or_b32 exec_lo, exec_lo, s14
	s_delay_alu instid0(SALU_CYCLE_1)
	s_and_b32 s14, s15, exec_lo
.LBB5_127:                              ;   in Loop: Header=BB5_4 Depth=1
	s_or_b32 exec_lo, exec_lo, s13
	s_delay_alu instid0(SALU_CYCLE_1)
	s_and_b32 s13, s14, exec_lo
.LBB5_128:                              ;   in Loop: Header=BB5_4 Depth=1
	s_or_b32 exec_lo, exec_lo, s10
	s_delay_alu instid0(SALU_CYCLE_1)
	s_and_b32 s10, s13, exec_lo
.LBB5_129:                              ;   in Loop: Header=BB5_4 Depth=1
	s_or_b32 exec_lo, exec_lo, s8
	v_cndmask_b32_e64 v3, 0, 1, s10
	s_mov_b32 s13, exec_lo
	s_delay_alu instid0(VALU_DEP_1)
	v_cmp_ne_u32_e32 vcc_lo, 0, v3
	s_and_saveexec_b32 s8, s0
	s_cbranch_execz .LBB5_3
; %bb.130:                              ;   in Loop: Header=BB5_4 Depth=1
	s_cmp_eq_u32 vcc_lo, s13
	s_cselect_b32 s10, -1, 0
	s_delay_alu instid0(SALU_CYCLE_1)
	v_cndmask_b32_e64 v3, 0, 1, s10
	ds_store_b32 v1, v3
	s_branch .LBB5_3
.LBB5_131:                              ;   in Loop: Header=BB5_4 Depth=1
	s_cbranch_execz .LBB5_4
.LBB5_132:
	s_mov_b32 s0, exec_lo
	v_cmpx_eq_u32_e32 0, v0
	s_cbranch_execz .LBB5_134
; %bb.133:
	s_mul_i32 s0, s11, s12
	v_mov_b32_e32 v1, s4
	s_add_co_i32 s0, s0, s1
	s_delay_alu instid0(SALU_CYCLE_1)
	v_mov_b32_e32 v0, s0
	global_store_b32 v0, v1, s[6:7] scale_offset
.LBB5_134:
	s_endpgm
	.section	.rodata,"a",@progbits
	.p2align	6, 0x0
	.amdhsa_kernel _ZL25flash_attn_mask_to_KV_maxILi32EEvPK7__half2Piiii
		.amdhsa_group_segment_fixed_size 128
		.amdhsa_private_segment_fixed_size 0
		.amdhsa_kernarg_size 288
		.amdhsa_user_sgpr_count 2
		.amdhsa_user_sgpr_dispatch_ptr 0
		.amdhsa_user_sgpr_queue_ptr 0
		.amdhsa_user_sgpr_kernarg_segment_ptr 1
		.amdhsa_user_sgpr_dispatch_id 0
		.amdhsa_user_sgpr_kernarg_preload_length 0
		.amdhsa_user_sgpr_kernarg_preload_offset 0
		.amdhsa_user_sgpr_private_segment_size 0
		.amdhsa_wavefront_size32 1
		.amdhsa_uses_dynamic_stack 0
		.amdhsa_enable_private_segment 0
		.amdhsa_system_sgpr_workgroup_id_x 1
		.amdhsa_system_sgpr_workgroup_id_y 1
		.amdhsa_system_sgpr_workgroup_id_z 0
		.amdhsa_system_sgpr_workgroup_info 0
		.amdhsa_system_vgpr_workitem_id 0
		.amdhsa_next_free_vgpr 6
		.amdhsa_next_free_sgpr 76
		.amdhsa_named_barrier_count 0
		.amdhsa_reserve_vcc 1
		.amdhsa_float_round_mode_32 0
		.amdhsa_float_round_mode_16_64 0
		.amdhsa_float_denorm_mode_32 3
		.amdhsa_float_denorm_mode_16_64 3
		.amdhsa_fp16_overflow 0
		.amdhsa_memory_ordered 1
		.amdhsa_forward_progress 1
		.amdhsa_inst_pref_size 28
		.amdhsa_round_robin_scheduling 0
		.amdhsa_exception_fp_ieee_invalid_op 0
		.amdhsa_exception_fp_denorm_src 0
		.amdhsa_exception_fp_ieee_div_zero 0
		.amdhsa_exception_fp_ieee_overflow 0
		.amdhsa_exception_fp_ieee_underflow 0
		.amdhsa_exception_fp_ieee_inexact 0
		.amdhsa_exception_int_div_zero 0
	.end_amdhsa_kernel
	.section	.text._ZL25flash_attn_mask_to_KV_maxILi32EEvPK7__half2Piiii,"axG",@progbits,_ZL25flash_attn_mask_to_KV_maxILi32EEvPK7__half2Piiii,comdat
.Lfunc_end5:
	.size	_ZL25flash_attn_mask_to_KV_maxILi32EEvPK7__half2Piiii, .Lfunc_end5-_ZL25flash_attn_mask_to_KV_maxILi32EEvPK7__half2Piiii
                                        ; -- End function
	.set _ZL25flash_attn_mask_to_KV_maxILi32EEvPK7__half2Piiii.num_vgpr, 6
	.set _ZL25flash_attn_mask_to_KV_maxILi32EEvPK7__half2Piiii.num_agpr, 0
	.set _ZL25flash_attn_mask_to_KV_maxILi32EEvPK7__half2Piiii.numbered_sgpr, 76
	.set _ZL25flash_attn_mask_to_KV_maxILi32EEvPK7__half2Piiii.num_named_barrier, 0
	.set _ZL25flash_attn_mask_to_KV_maxILi32EEvPK7__half2Piiii.private_seg_size, 0
	.set _ZL25flash_attn_mask_to_KV_maxILi32EEvPK7__half2Piiii.uses_vcc, 1
	.set _ZL25flash_attn_mask_to_KV_maxILi32EEvPK7__half2Piiii.uses_flat_scratch, 0
	.set _ZL25flash_attn_mask_to_KV_maxILi32EEvPK7__half2Piiii.has_dyn_sized_stack, 0
	.set _ZL25flash_attn_mask_to_KV_maxILi32EEvPK7__half2Piiii.has_recursion, 0
	.set _ZL25flash_attn_mask_to_KV_maxILi32EEvPK7__half2Piiii.has_indirect_call, 0
	.section	.AMDGPU.csdata,"",@progbits
; Kernel info:
; codeLenInByte = 3548
; TotalNumSgprs: 78
; NumVgprs: 6
; ScratchSize: 0
; MemoryBound: 0
; FloatMode: 240
; IeeeMode: 1
; LDSByteSize: 128 bytes/workgroup (compile time only)
; SGPRBlocks: 0
; VGPRBlocks: 0
; NumSGPRsForWavesPerEU: 78
; NumVGPRsForWavesPerEU: 6
; NamedBarCnt: 0
; Occupancy: 16
; WaveLimiterHint : 0
; COMPUTE_PGM_RSRC2:SCRATCH_EN: 0
; COMPUTE_PGM_RSRC2:USER_SGPR: 2
; COMPUTE_PGM_RSRC2:TRAP_HANDLER: 0
; COMPUTE_PGM_RSRC2:TGID_X_EN: 1
; COMPUTE_PGM_RSRC2:TGID_Y_EN: 1
; COMPUTE_PGM_RSRC2:TGID_Z_EN: 0
; COMPUTE_PGM_RSRC2:TIDIG_COMP_CNT: 0
	.section	.text._ZL33flash_attn_stream_k_fixup_uniformILi64ELi32ELi1EEvPfPK15HIP_vector_typeIfLj2EEiiiiiiS1_IjLj3EES5_S5_,"axG",@progbits,_ZL33flash_attn_stream_k_fixup_uniformILi64ELi32ELi1EEvPfPK15HIP_vector_typeIfLj2EEiiiiiiS1_IjLj3EES5_S5_,comdat
	.globl	_ZL33flash_attn_stream_k_fixup_uniformILi64ELi32ELi1EEvPfPK15HIP_vector_typeIfLj2EEiiiiiiS1_IjLj3EES5_S5_ ; -- Begin function _ZL33flash_attn_stream_k_fixup_uniformILi64ELi32ELi1EEvPfPK15HIP_vector_typeIfLj2EEiiiiiiS1_IjLj3EES5_S5_
	.p2align	8
	.type	_ZL33flash_attn_stream_k_fixup_uniformILi64ELi32ELi1EEvPfPK15HIP_vector_typeIfLj2EEiiiiiiS1_IjLj3EES5_S5_,@function
_ZL33flash_attn_stream_k_fixup_uniformILi64ELi32ELi1EEvPfPK15HIP_vector_typeIfLj2EEiiiiiiS1_IjLj3EES5_S5_: ; @_ZL33flash_attn_stream_k_fixup_uniformILi64ELi32ELi1EEvPfPK15HIP_vector_typeIfLj2EEiiiiiiS1_IjLj3EES5_S5_
; %bb.0:
	s_load_b256 s[4:11], s[0:1], 0x1c
	s_bfe_u32 s2, ttmp6, 0x40014
	s_lshr_b32 s3, ttmp7, 16
	s_add_co_i32 s2, s2, 1
	s_bfe_u32 s13, ttmp6, 0x40010
	s_mul_i32 s2, s3, s2
	s_bfe_u32 s12, ttmp6, 0x40008
	s_and_b32 s14, ttmp7, 0xffff
	s_add_co_i32 s13, s13, 1
	s_bfe_u32 s15, ttmp6, 0x4000c
	s_add_co_i32 s2, s12, s2
	s_mul_i32 s12, s14, s13
	s_bfe_u32 s13, ttmp6, 0x40004
	s_add_co_i32 s15, s15, 1
	s_add_co_i32 s13, s13, s12
	s_and_b32 s12, ttmp6, 15
	s_mul_i32 s15, ttmp9, s15
	s_getreg_b32 s20, hwreg(HW_REG_IB_STS2, 6, 4)
	s_add_co_i32 s12, s12, s15
	s_load_b128 s[16:19], s[0:1], 0x3c
	s_cmp_eq_u32 s20, 0
	s_cselect_b32 s12, ttmp9, s12
	s_cselect_b32 s13, s14, s13
	s_wait_kmcnt 0x0
	s_mul_hi_u32 s7, s7, s12
	s_cselect_b32 s14, s3, s2
	s_add_co_i32 s2, s12, s7
	s_delay_alu instid0(SALU_CYCLE_1) | instskip(NEXT) | instid1(SALU_CYCLE_1)
	s_lshr_b32 s7, s2, s8
	s_mul_i32 s2, s7, s9
	s_delay_alu instid0(SALU_CYCLE_1) | instskip(NEXT) | instid1(SALU_CYCLE_1)
	s_sub_co_i32 s8, s12, s2
	s_mul_hi_u32 s2, s8, s10
	s_delay_alu instid0(SALU_CYCLE_1) | instskip(SKIP_2) | instid1(SALU_CYCLE_1)
	s_add_co_i32 s9, s8, s2
	s_load_b64 s[2:3], s[0:1], 0x10
	s_lshr_b32 s15, s9, s11
	s_mul_i32 s9, s15, s16
	s_delay_alu instid0(SALU_CYCLE_1) | instskip(NEXT) | instid1(SALU_CYCLE_1)
	s_sub_co_i32 s8, s8, s9
	s_mul_hi_u32 s9, s8, s17
	s_delay_alu instid0(SALU_CYCLE_1) | instskip(NEXT) | instid1(SALU_CYCLE_1)
	s_add_co_i32 s9, s8, s9
	s_lshr_b32 s16, s9, s18
	s_delay_alu instid0(SALU_CYCLE_1) | instskip(NEXT) | instid1(SALU_CYCLE_1)
	s_mul_i32 s9, s16, s19
	s_sub_co_i32 s17, s8, s9
	s_delay_alu instid0(SALU_CYCLE_1) | instskip(NEXT) | instid1(SALU_CYCLE_1)
	s_lshl_b32 s8, s17, 5
	s_add_co_i32 s8, s8, s13
	s_wait_kmcnt 0x0
	s_cmp_lt_i32 s8, s2
	s_cselect_b32 s8, -1, 0
	s_add_co_i32 s9, s16, s14
	s_delay_alu instid0(SALU_CYCLE_1) | instskip(SKIP_1) | instid1(SALU_CYCLE_1)
	s_cmp_lt_i32 s9, s5
	s_cselect_b32 s9, -1, 0
	s_and_b32 s8, s8, s9
	s_delay_alu instid0(SALU_CYCLE_1)
	s_and_not1_b32 vcc_lo, exec_lo, s8
	s_cbranch_vccnz .LBB6_6
; %bb.1:
	s_mul_i32 s2, s7, s2
	s_load_b128 s[8:11], s[0:1], 0x0
	s_wait_xcnt 0x0
	s_add_co_i32 s0, s2, s13
	s_mul_i32 s15, s15, s5
	s_mul_i32 s0, s0, s3
	;; [unrolled: 1-line block ×3, first 2 shown]
	s_add_co_i32 s0, s0, s14
	s_lshl_b32 s1, s1, 11
	s_add_co_i32 s0, s0, s15
	s_mul_i32 s7, s6, s12
	s_add_co_i32 s0, s0, s16
	s_add_co_i32 s5, s7, s6
	s_lshl_b32 s0, s0, 6
	s_add_co_i32 s13, s13, s14
	s_add_co_i32 s1, s1, s0
	s_lshl_b32 s0, s5, 5
	v_or_b32_e32 v4, s1, v0
	s_add_co_i32 s0, s13, s0
	s_add_co_i32 s2, s5, -2
	s_sub_co_i32 s0, s0, 32
	s_delay_alu instid0(SALU_CYCLE_1)
	s_ashr_i32 s1, s0, 31
	s_wait_kmcnt 0x0
	global_load_b32 v3, v4, s[8:9] scale_offset
	s_lshl_b64 s[0:1], s[0:1], 3
	v_ashrrev_i32_e32 v5, 31, v4
	s_add_nc_u64 s[0:1], s[10:11], s[0:1]
	s_cmp_lt_i32 s2, s7
	s_load_b32 s14, s[0:1], 0x4
	s_cbranch_scc1 .LBB6_4
; %bb.2:
	s_wait_xcnt 0x0
	s_load_b32 s0, s[0:1], 0x0
	s_add_co_i32 s12, s12, 1
	s_lshl_b32 s3, s13, 6
	s_wait_xcnt 0x0
	s_mul_i32 s1, s6, s12
	s_lshl_b32 s2, s4, 7
	s_lshl_b32 s6, s1, 11
	;; [unrolled: 1-line block ×3, first 2 shown]
	s_add_co_i32 s6, s3, s6
	s_ashr_i32 s3, s2, 31
	s_wait_kmcnt 0x0
	v_dual_mov_b32 v2, s14 :: v_dual_bitop2_b32 v0, s6, v0 bitop3:0x54
	s_add_co_i32 s1, s13, s1
	s_lshl_b32 s4, s4, 5
	s_lshl_b64 s[2:3], s[2:3], 2
	s_delay_alu instid0(VALU_DEP_1)
	v_add_nc_u32_e32 v0, 0xfffff000, v0
	s_add_co_i32 s4, s1, s4
	s_add_nc_u64 s[2:3], s[10:11], s[2:3]
	s_add_co_i32 s1, s5, -1
	s_sub_co_i32 s4, s4, 64
.LBB6_3:                                ; =>This Inner Loop Header: Depth=1
	global_load_b32 v7, v0, s[2:3] scale_offset
	s_ashr_i32 s5, s4, 31
	v_max_num_f32_e64 v1, s0, s0
	s_lshl_b64 s[12:13], s[4:5], 3
	s_delay_alu instid0(SALU_CYCLE_1) | instskip(SKIP_1) | instid1(VALU_DEP_1)
	s_add_nc_u64 s[12:13], s[10:11], s[12:13]
	s_load_b64 s[12:13], s[12:13], 0x0
	v_readfirstlane_b32 s5, v1
	v_add_nc_u32_e32 v0, 0xfffff800, v0
	s_wait_kmcnt 0x0
	v_max_num_f32_e64 v1, s12, s12
	s_delay_alu instid0(VALU_DEP_1) | instskip(SKIP_1) | instid1(SALU_CYCLE_3)
	v_readfirstlane_b32 s6, v1
	s_max_num_f32 s5, s5, s6
	s_sub_f32 s0, s0, s5
	s_sub_f32 s6, s12, s5
	s_delay_alu instid0(SALU_CYCLE_2) | instskip(NEXT) | instid1(SALU_CYCLE_2)
	s_mul_f32 s12, s0, 0x3fb8aa3b
	s_mul_f32 s14, s6, 0x3fb8aa3b
	s_delay_alu instid0(SALU_CYCLE_2)
	s_xor_b32 s15, s12, 0x80000000
	s_rndne_f32 s16, s12
	s_fmamk_f32 s15, s0, 0x3fb8aa3b, s15
	s_cmp_nlt_f32 s0, 0xc2ce8ed0
	s_rndne_f32 s17, s14
	s_sub_f32 s12, s12, s16
	s_fmamk_f32 s15, s0, 0x32a5705f, s15
	s_cselect_b32 vcc_lo, -1, 0
	s_cmp_ngt_f32 s0, 0x42b17218
	s_delay_alu instid0(SALU_CYCLE_1) | instskip(SKIP_2) | instid1(SALU_CYCLE_1)
	s_add_f32 s12, s12, s15
	s_cvt_i32_f32 s15, s16
	s_sub_f32 s16, s14, s17
	v_s_exp_f32 s12, s12
	v_nop
	s_delay_alu instid0(TRANS32_DEP_1) | instskip(SKIP_1) | instid1(VALU_DEP_1)
	v_ldexp_f32 v1, s12, s15
	s_cvt_i32_f32 s12, s17
	v_cndmask_b32_e32 v1, 0, v1, vcc_lo
	s_cselect_b32 vcc_lo, -1, 0
	s_cmp_ge_f32 s0, 0xc1a00000
	s_delay_alu instid0(VALU_DEP_1)
	v_cndmask_b32_e32 v1, 0x7f800000, v1, vcc_lo
	s_cselect_b32 vcc_lo, -1, 0
	s_xor_b32 s0, s14, 0x80000000
	s_cmp_nlt_f32 s6, 0xc2ce8ed0
	s_fmamk_f32 s0, s6, 0x3fb8aa3b, s0
	v_cndmask_b32_e32 v10, 0, v1, vcc_lo
	s_delay_alu instid0(SALU_CYCLE_2) | instskip(NEXT) | instid1(SALU_CYCLE_3)
	s_fmamk_f32 s0, s6, 0x32a5705f, s0
	s_add_f32 s0, s16, s0
	s_delay_alu instid0(SALU_CYCLE_3) | instskip(SKIP_1) | instid1(TRANS32_DEP_1)
	v_s_exp_f32 s0, s0
	v_nop
	v_ldexp_f32 v6, s0, s12
	s_cselect_b32 s0, -1, 0
	s_cmp_ngt_f32 s6, 0x42b17218
	s_delay_alu instid0(VALU_DEP_1) | instskip(SKIP_2) | instid1(VALU_DEP_1)
	v_cndmask_b32_e64 v6, 0, v6, s0
	s_cselect_b32 s0, -1, 0
	s_cmp_ge_f32 s6, 0xc1a00000
	v_cndmask_b32_e64 v8, 0x7f800000, v6, s0
	s_cselect_b32 s0, -1, 0
	v_mov_b32_e32 v6, s13
	s_add_co_i32 s1, s1, -1
	s_sub_co_i32 s4, s4, 32
	v_cndmask_b32_e64 v8, 0, v8, s0
	s_cmp_le_i32 s1, s7
	s_mov_b32 s0, s5
	s_wait_loadcnt 0x0
	s_delay_alu instid0(VALU_DEP_1) | instskip(NEXT) | instid1(VALU_DEP_1)
	v_pk_mul_f32 v[6:7], v[6:7], v[8:9] op_sel_hi:[1,0]
	v_pk_fma_f32 v[2:3], v[2:3], v[10:11], v[6:7] op_sel_hi:[1,0,1]
	s_cbranch_scc0 .LBB6_3
	s_branch .LBB6_5
.LBB6_4:
	s_wait_kmcnt 0x0
	v_mov_b32_e32 v2, s14
.LBB6_5:
	v_lshl_add_u64 v[0:1], v[4:5], 2, s[8:9]
	s_wait_loadcnt 0x0
	s_delay_alu instid0(VALU_DEP_2) | instskip(NEXT) | instid1(VALU_DEP_1)
	v_div_scale_f32 v4, null, v2, v2, v3
	v_rcp_f32_e32 v5, v4
	v_nop
	s_delay_alu instid0(TRANS32_DEP_1) | instskip(NEXT) | instid1(VALU_DEP_1)
	v_fma_f32 v6, -v4, v5, 1.0
	v_fmac_f32_e32 v5, v6, v5
	v_div_scale_f32 v6, vcc_lo, v3, v2, v3
	s_delay_alu instid0(VALU_DEP_1) | instskip(NEXT) | instid1(VALU_DEP_1)
	v_mul_f32_e32 v7, v6, v5
	v_fma_f32 v8, -v4, v7, v6
	s_delay_alu instid0(VALU_DEP_1) | instskip(NEXT) | instid1(VALU_DEP_1)
	v_fmac_f32_e32 v7, v8, v5
	v_fma_f32 v4, -v4, v7, v6
	s_delay_alu instid0(VALU_DEP_1) | instskip(NEXT) | instid1(VALU_DEP_1)
	v_div_fmas_f32 v4, v4, v5, v7
	v_div_fixup_f32 v2, v4, v2, v3
	global_store_b32 v[0:1], v2, off
.LBB6_6:
	s_endpgm
	.section	.rodata,"a",@progbits
	.p2align	6, 0x0
	.amdhsa_kernel _ZL33flash_attn_stream_k_fixup_uniformILi64ELi32ELi1EEvPfPK15HIP_vector_typeIfLj2EEiiiiiiS1_IjLj3EES5_S5_
		.amdhsa_group_segment_fixed_size 0
		.amdhsa_private_segment_fixed_size 0
		.amdhsa_kernarg_size 76
		.amdhsa_user_sgpr_count 2
		.amdhsa_user_sgpr_dispatch_ptr 0
		.amdhsa_user_sgpr_queue_ptr 0
		.amdhsa_user_sgpr_kernarg_segment_ptr 1
		.amdhsa_user_sgpr_dispatch_id 0
		.amdhsa_user_sgpr_kernarg_preload_length 0
		.amdhsa_user_sgpr_kernarg_preload_offset 0
		.amdhsa_user_sgpr_private_segment_size 0
		.amdhsa_wavefront_size32 1
		.amdhsa_uses_dynamic_stack 0
		.amdhsa_enable_private_segment 0
		.amdhsa_system_sgpr_workgroup_id_x 1
		.amdhsa_system_sgpr_workgroup_id_y 1
		.amdhsa_system_sgpr_workgroup_id_z 1
		.amdhsa_system_sgpr_workgroup_info 0
		.amdhsa_system_vgpr_workitem_id 0
		.amdhsa_next_free_vgpr 12
		.amdhsa_next_free_sgpr 21
		.amdhsa_named_barrier_count 0
		.amdhsa_reserve_vcc 1
		.amdhsa_float_round_mode_32 0
		.amdhsa_float_round_mode_16_64 0
		.amdhsa_float_denorm_mode_32 3
		.amdhsa_float_denorm_mode_16_64 3
		.amdhsa_fp16_overflow 0
		.amdhsa_memory_ordered 1
		.amdhsa_forward_progress 1
		.amdhsa_inst_pref_size 9
		.amdhsa_round_robin_scheduling 0
		.amdhsa_exception_fp_ieee_invalid_op 0
		.amdhsa_exception_fp_denorm_src 0
		.amdhsa_exception_fp_ieee_div_zero 0
		.amdhsa_exception_fp_ieee_overflow 0
		.amdhsa_exception_fp_ieee_underflow 0
		.amdhsa_exception_fp_ieee_inexact 0
		.amdhsa_exception_int_div_zero 0
	.end_amdhsa_kernel
	.section	.text._ZL33flash_attn_stream_k_fixup_uniformILi64ELi32ELi1EEvPfPK15HIP_vector_typeIfLj2EEiiiiiiS1_IjLj3EES5_S5_,"axG",@progbits,_ZL33flash_attn_stream_k_fixup_uniformILi64ELi32ELi1EEvPfPK15HIP_vector_typeIfLj2EEiiiiiiS1_IjLj3EES5_S5_,comdat
.Lfunc_end6:
	.size	_ZL33flash_attn_stream_k_fixup_uniformILi64ELi32ELi1EEvPfPK15HIP_vector_typeIfLj2EEiiiiiiS1_IjLj3EES5_S5_, .Lfunc_end6-_ZL33flash_attn_stream_k_fixup_uniformILi64ELi32ELi1EEvPfPK15HIP_vector_typeIfLj2EEiiiiiiS1_IjLj3EES5_S5_
                                        ; -- End function
	.set _ZL33flash_attn_stream_k_fixup_uniformILi64ELi32ELi1EEvPfPK15HIP_vector_typeIfLj2EEiiiiiiS1_IjLj3EES5_S5_.num_vgpr, 12
	.set _ZL33flash_attn_stream_k_fixup_uniformILi64ELi32ELi1EEvPfPK15HIP_vector_typeIfLj2EEiiiiiiS1_IjLj3EES5_S5_.num_agpr, 0
	.set _ZL33flash_attn_stream_k_fixup_uniformILi64ELi32ELi1EEvPfPK15HIP_vector_typeIfLj2EEiiiiiiS1_IjLj3EES5_S5_.numbered_sgpr, 21
	.set _ZL33flash_attn_stream_k_fixup_uniformILi64ELi32ELi1EEvPfPK15HIP_vector_typeIfLj2EEiiiiiiS1_IjLj3EES5_S5_.num_named_barrier, 0
	.set _ZL33flash_attn_stream_k_fixup_uniformILi64ELi32ELi1EEvPfPK15HIP_vector_typeIfLj2EEiiiiiiS1_IjLj3EES5_S5_.private_seg_size, 0
	.set _ZL33flash_attn_stream_k_fixup_uniformILi64ELi32ELi1EEvPfPK15HIP_vector_typeIfLj2EEiiiiiiS1_IjLj3EES5_S5_.uses_vcc, 1
	.set _ZL33flash_attn_stream_k_fixup_uniformILi64ELi32ELi1EEvPfPK15HIP_vector_typeIfLj2EEiiiiiiS1_IjLj3EES5_S5_.uses_flat_scratch, 0
	.set _ZL33flash_attn_stream_k_fixup_uniformILi64ELi32ELi1EEvPfPK15HIP_vector_typeIfLj2EEiiiiiiS1_IjLj3EES5_S5_.has_dyn_sized_stack, 0
	.set _ZL33flash_attn_stream_k_fixup_uniformILi64ELi32ELi1EEvPfPK15HIP_vector_typeIfLj2EEiiiiiiS1_IjLj3EES5_S5_.has_recursion, 0
	.set _ZL33flash_attn_stream_k_fixup_uniformILi64ELi32ELi1EEvPfPK15HIP_vector_typeIfLj2EEiiiiiiS1_IjLj3EES5_S5_.has_indirect_call, 0
	.section	.AMDGPU.csdata,"",@progbits
; Kernel info:
; codeLenInByte = 1080
; TotalNumSgprs: 23
; NumVgprs: 12
; ScratchSize: 0
; MemoryBound: 0
; FloatMode: 240
; IeeeMode: 1
; LDSByteSize: 0 bytes/workgroup (compile time only)
; SGPRBlocks: 0
; VGPRBlocks: 0
; NumSGPRsForWavesPerEU: 23
; NumVGPRsForWavesPerEU: 12
; NamedBarCnt: 0
; Occupancy: 16
; WaveLimiterHint : 0
; COMPUTE_PGM_RSRC2:SCRATCH_EN: 0
; COMPUTE_PGM_RSRC2:USER_SGPR: 2
; COMPUTE_PGM_RSRC2:TRAP_HANDLER: 0
; COMPUTE_PGM_RSRC2:TGID_X_EN: 1
; COMPUTE_PGM_RSRC2:TGID_Y_EN: 1
; COMPUTE_PGM_RSRC2:TGID_Z_EN: 1
; COMPUTE_PGM_RSRC2:TIDIG_COMP_CNT: 0
	.section	.text._ZL33flash_attn_stream_k_fixup_generalILi64ELi32ELi1EEvPfPK15HIP_vector_typeIfLj2EEiiiiS1_IjLj3EES5_S5_S5_,"axG",@progbits,_ZL33flash_attn_stream_k_fixup_generalILi64ELi32ELi1EEvPfPK15HIP_vector_typeIfLj2EEiiiiS1_IjLj3EES5_S5_S5_,comdat
	.globl	_ZL33flash_attn_stream_k_fixup_generalILi64ELi32ELi1EEvPfPK15HIP_vector_typeIfLj2EEiiiiS1_IjLj3EES5_S5_S5_ ; -- Begin function _ZL33flash_attn_stream_k_fixup_generalILi64ELi32ELi1EEvPfPK15HIP_vector_typeIfLj2EEiiiiS1_IjLj3EES5_S5_S5_
	.p2align	8
	.type	_ZL33flash_attn_stream_k_fixup_generalILi64ELi32ELi1EEvPfPK15HIP_vector_typeIfLj2EEiiiiS1_IjLj3EES5_S5_S5_,@function
_ZL33flash_attn_stream_k_fixup_generalILi64ELi32ELi1EEvPfPK15HIP_vector_typeIfLj2EEiiiiS1_IjLj3EES5_S5_S5_: ; @_ZL33flash_attn_stream_k_fixup_generalILi64ELi32ELi1EEvPfPK15HIP_vector_typeIfLj2EEiiiiS1_IjLj3EES5_S5_S5_
; %bb.0:
	s_clause 0x1
	s_load_b128 s[4:7], s[0:1], 0x10
	s_load_b32 s16, s[0:1], 0x50
	s_bfe_u32 s2, ttmp6, 0x4000c
	s_and_b32 s3, ttmp6, 15
	s_add_co_i32 s2, s2, 1
	s_getreg_b32 s15, hwreg(HW_REG_IB_STS2, 6, 4)
	s_mul_i32 s2, ttmp9, s2
	s_mov_b32 s17, 0
	s_add_co_i32 s3, s3, s2
	s_cmp_eq_u32 s15, 0
	s_cselect_b32 s2, ttmp9, s3
	s_delay_alu instid0(SALU_CYCLE_1) | instskip(SKIP_3) | instid1(SALU_CYCLE_1)
	s_ashr_i32 s3, s2, 31
	s_wait_kmcnt 0x0
	s_ashr_i32 s19, s7, 31
	s_mov_b32 s18, s7
	s_mul_u64 s[8:9], s[18:19], s[2:3]
	s_delay_alu instid0(SALU_CYCLE_1) | instskip(NEXT) | instid1(SALU_CYCLE_1)
	s_and_b64 s[10:11], s[8:9], 0xffffffff00000000
	s_cmp_lg_u64 s[10:11], 0
	s_cbranch_scc0 .LBB7_21
; %bb.1:
	s_add_nc_u64 s[10:11], s[16:17], 0
	s_mov_b32 s23, s17
	s_xor_b64 s[10:11], s[10:11], 0
	s_mov_b32 s27, s17
	s_cvt_f32_u32 s3, s10
	s_cvt_f32_u32 s7, s11
	s_sub_nc_u64 s[20:21], 0, s[10:11]
	s_delay_alu instid0(SALU_CYCLE_2) | instskip(NEXT) | instid1(SALU_CYCLE_3)
	s_fmamk_f32 s3, s7, 0x4f800000, s3
	v_s_rcp_f32 s3, s3
	s_delay_alu instid0(TRANS32_DEP_1) | instskip(NEXT) | instid1(SALU_CYCLE_3)
	s_mul_f32 s3, s3, 0x5f7ffffc
	s_mul_f32 s7, s3, 0x2f800000
	s_delay_alu instid0(SALU_CYCLE_3) | instskip(NEXT) | instid1(SALU_CYCLE_3)
	s_trunc_f32 s7, s7
	s_fmamk_f32 s3, s7, 0xcf800000, s3
	s_cvt_u32_f32 s13, s7
	s_delay_alu instid0(SALU_CYCLE_2) | instskip(NEXT) | instid1(SALU_CYCLE_3)
	s_cvt_u32_f32 s12, s3
	s_mul_u64 s[24:25], s[20:21], s[12:13]
	s_delay_alu instid0(SALU_CYCLE_1)
	s_mul_hi_u32 s29, s12, s25
	s_mul_i32 s28, s12, s25
	s_mul_hi_u32 s22, s12, s24
	s_mul_i32 s7, s13, s24
	s_add_nc_u64 s[22:23], s[22:23], s[28:29]
	s_mul_hi_u32 s3, s13, s24
	s_mul_hi_u32 s14, s13, s25
	s_add_co_u32 s7, s22, s7
	s_add_co_ci_u32 s26, s23, s3
	s_mul_i32 s24, s13, s25
	s_add_co_ci_u32 s25, s14, 0
	s_delay_alu instid0(SALU_CYCLE_1) | instskip(SKIP_3) | instid1(SALU_CYCLE_1)
	s_add_nc_u64 s[22:23], s[26:27], s[24:25]
	s_mov_b32 s25, s17
	s_add_co_u32 s12, s12, s22
	s_cselect_b32 s3, -1, 0
	s_cmp_lg_u32 s3, 0
	s_add_co_ci_u32 s13, s13, s23
	s_mov_b32 s23, s17
	s_mul_u64 s[20:21], s[20:21], s[12:13]
	s_delay_alu instid0(SALU_CYCLE_1)
	s_mul_hi_u32 s27, s12, s21
	s_mul_i32 s26, s12, s21
	s_mul_hi_u32 s22, s12, s20
	s_mul_i32 s7, s13, s20
	s_add_nc_u64 s[22:23], s[22:23], s[26:27]
	s_mul_hi_u32 s3, s13, s20
	s_mul_hi_u32 s14, s13, s21
	s_add_co_u32 s7, s22, s7
	s_add_co_ci_u32 s24, s23, s3
	s_mul_i32 s20, s13, s21
	s_add_co_ci_u32 s21, s14, 0
	s_mov_b32 s23, s17
	s_add_nc_u64 s[20:21], s[24:25], s[20:21]
	s_delay_alu instid0(SALU_CYCLE_1) | instskip(SKIP_1) | instid1(SALU_CYCLE_1)
	s_add_co_u32 s3, s12, s20
	s_cselect_b32 s7, -1, 0
	s_cmp_lg_u32 s7, 0
	s_add_co_ci_u32 s7, s13, s21
	s_ashr_i32 s12, s9, 31
	s_delay_alu instid0(SALU_CYCLE_1) | instskip(NEXT) | instid1(SALU_CYCLE_1)
	s_mov_b32 s13, s12
	s_add_nc_u64 s[20:21], s[8:9], s[12:13]
	s_delay_alu instid0(SALU_CYCLE_1) | instskip(NEXT) | instid1(SALU_CYCLE_1)
	s_xor_b64 s[20:21], s[20:21], s[12:13]
	s_mul_hi_u32 s27, s20, s7
	s_mul_i32 s26, s20, s7
	s_mul_hi_u32 s22, s20, s3
	s_mul_hi_u32 s14, s21, s3
	s_mul_i32 s3, s21, s3
	s_add_nc_u64 s[22:23], s[22:23], s[26:27]
	s_mul_hi_u32 s9, s21, s7
	s_add_co_u32 s3, s22, s3
	s_add_co_ci_u32 s24, s23, s14
	s_mul_i32 s26, s21, s7
	s_add_co_ci_u32 s27, s9, 0
	s_delay_alu instid0(SALU_CYCLE_1) | instskip(NEXT) | instid1(SALU_CYCLE_1)
	s_add_nc_u64 s[22:23], s[24:25], s[26:27]
	s_and_b64 s[24:25], s[22:23], 0xffffffff00000000
	s_delay_alu instid0(SALU_CYCLE_1) | instskip(NEXT) | instid1(SALU_CYCLE_1)
	s_or_b32 s24, s24, s22
	s_mul_u64 s[22:23], s[10:11], s[24:25]
	s_add_nc_u64 s[26:27], s[24:25], 1
	s_sub_co_u32 s3, s20, s22
	s_cselect_b32 s7, -1, 0
	s_sub_co_i32 s9, s21, s23
	s_cmp_lg_u32 s7, 0
	s_add_nc_u64 s[28:29], s[24:25], 2
	s_sub_co_ci_u32 s9, s9, s11
	s_sub_co_u32 s14, s3, s10
	s_cselect_b32 s20, -1, 0
	s_delay_alu instid0(SALU_CYCLE_1) | instskip(SKIP_1) | instid1(SALU_CYCLE_1)
	s_cmp_lg_u32 s20, 0
	s_sub_co_ci_u32 s9, s9, 0
	s_cmp_ge_u32 s9, s11
	s_cselect_b32 s20, -1, 0
	s_cmp_ge_u32 s14, s10
	s_cselect_b32 s14, -1, 0
	s_cmp_eq_u32 s9, s11
	s_cselect_b32 s9, s14, s20
	s_delay_alu instid0(SALU_CYCLE_1) | instskip(SKIP_4) | instid1(SALU_CYCLE_1)
	s_cmp_lg_u32 s9, 0
	s_cselect_b32 s9, s28, s26
	s_cselect_b32 s14, s29, s27
	s_cmp_lg_u32 s7, 0
	s_sub_co_ci_u32 s7, s21, s23
	s_cmp_ge_u32 s7, s11
	s_cselect_b32 s20, -1, 0
	s_cmp_ge_u32 s3, s10
	s_cselect_b32 s3, -1, 0
	s_cmp_eq_u32 s7, s11
	s_cselect_b32 s3, s3, s20
	s_delay_alu instid0(SALU_CYCLE_1) | instskip(SKIP_4) | instid1(SALU_CYCLE_1)
	s_cmp_lg_u32 s3, 0
	s_mov_b32 s3, s17
	s_cselect_b32 s11, s14, s25
	s_cselect_b32 s10, s9, s24
	s_xor_b64 s[12:13], s[12:13], 0
	s_xor_b64 s[10:11], s[10:11], s[12:13]
	s_delay_alu instid0(SALU_CYCLE_1)
	s_sub_nc_u64 s[20:21], s[10:11], s[12:13]
	s_and_not1_b32 vcc_lo, exec_lo, s3
	s_cbranch_vccnz .LBB7_3
.LBB7_2:
	v_cvt_f32_u32_e32 v1, s16
	s_sub_co_i32 s7, 0, s16
	s_mov_b32 s21, 0
	s_delay_alu instid0(VALU_DEP_1) | instskip(SKIP_1) | instid1(TRANS32_DEP_1)
	v_rcp_iflag_f32_e32 v1, v1
	v_nop
	v_mul_f32_e32 v1, 0x4f7ffffe, v1
	s_delay_alu instid0(VALU_DEP_1) | instskip(NEXT) | instid1(VALU_DEP_1)
	v_cvt_u32_f32_e32 v1, v1
	v_readfirstlane_b32 s3, v1
	s_mul_i32 s7, s7, s3
	s_delay_alu instid0(SALU_CYCLE_1) | instskip(NEXT) | instid1(SALU_CYCLE_1)
	s_mul_hi_u32 s7, s3, s7
	s_add_co_i32 s3, s3, s7
	s_delay_alu instid0(SALU_CYCLE_1) | instskip(NEXT) | instid1(SALU_CYCLE_1)
	s_mul_hi_u32 s3, s8, s3
	s_mul_i32 s7, s3, s16
	s_delay_alu instid0(SALU_CYCLE_1)
	s_sub_co_i32 s7, s8, s7
	s_add_co_i32 s8, s3, 1
	s_sub_co_i32 s9, s7, s16
	s_cmp_ge_u32 s7, s16
	s_cselect_b32 s3, s8, s3
	s_cselect_b32 s7, s9, s7
	s_add_co_i32 s8, s3, 1
	s_cmp_ge_u32 s7, s16
	s_cselect_b32 s20, s8, s3
.LBB7_3:
	s_add_co_i32 s8, s2, 1
	s_delay_alu instid0(SALU_CYCLE_1) | instskip(NEXT) | instid1(SALU_CYCLE_1)
	s_ashr_i32 s9, s8, 31
	s_mul_u64 s[8:9], s[18:19], s[8:9]
	s_delay_alu instid0(SALU_CYCLE_1) | instskip(NEXT) | instid1(SALU_CYCLE_1)
	s_and_b64 s[10:11], s[8:9], 0xffffffff00000000
	s_cmp_lg_u64 s[10:11], 0
	s_cbranch_scc0 .LBB7_22
; %bb.4:
	s_add_nc_u64 s[10:11], s[16:17], 0
	s_delay_alu instid0(SALU_CYCLE_1) | instskip(SKIP_4) | instid1(SALU_CYCLE_2)
	s_xor_b64 s[12:13], s[10:11], 0
	s_mov_b32 s11, 0
	s_cvt_f32_u32 s3, s12
	s_cvt_f32_u32 s7, s13
	s_sub_nc_u64 s[24:25], 0, s[12:13]
	s_fmamk_f32 s3, s7, 0x4f800000, s3
	s_delay_alu instid0(SALU_CYCLE_3) | instskip(NEXT) | instid1(TRANS32_DEP_1)
	v_s_rcp_f32 s3, s3
	s_mul_f32 s3, s3, 0x5f7ffffc
	s_delay_alu instid0(SALU_CYCLE_3) | instskip(NEXT) | instid1(SALU_CYCLE_3)
	s_mul_f32 s7, s3, 0x2f800000
	s_trunc_f32 s7, s7
	s_delay_alu instid0(SALU_CYCLE_3) | instskip(SKIP_1) | instid1(SALU_CYCLE_2)
	s_fmamk_f32 s3, s7, 0xcf800000, s3
	s_cvt_u32_f32 s23, s7
	s_cvt_u32_f32 s22, s3
	s_delay_alu instid0(SALU_CYCLE_3) | instskip(NEXT) | instid1(SALU_CYCLE_1)
	s_mul_u64 s[26:27], s[24:25], s[22:23]
	s_mul_hi_u32 s29, s22, s27
	s_mul_i32 s28, s22, s27
	s_mul_hi_u32 s10, s22, s26
	s_mul_i32 s7, s23, s26
	s_add_nc_u64 s[28:29], s[10:11], s[28:29]
	s_mul_hi_u32 s3, s23, s26
	s_mul_hi_u32 s14, s23, s27
	s_add_co_u32 s7, s28, s7
	s_add_co_ci_u32 s10, s29, s3
	s_mul_i32 s26, s23, s27
	s_add_co_ci_u32 s27, s14, 0
	s_delay_alu instid0(SALU_CYCLE_1) | instskip(NEXT) | instid1(SALU_CYCLE_1)
	s_add_nc_u64 s[26:27], s[10:11], s[26:27]
	s_add_co_u32 s22, s22, s26
	s_cselect_b32 s3, -1, 0
	s_delay_alu instid0(SALU_CYCLE_1) | instskip(SKIP_1) | instid1(SALU_CYCLE_1)
	s_cmp_lg_u32 s3, 0
	s_add_co_ci_u32 s23, s23, s27
	s_mul_u64 s[24:25], s[24:25], s[22:23]
	s_delay_alu instid0(SALU_CYCLE_1)
	s_mul_hi_u32 s27, s22, s25
	s_mul_i32 s26, s22, s25
	s_mul_hi_u32 s10, s22, s24
	s_mul_i32 s7, s23, s24
	s_add_nc_u64 s[26:27], s[10:11], s[26:27]
	s_mul_hi_u32 s3, s23, s24
	s_mul_hi_u32 s14, s23, s25
	s_add_co_u32 s7, s26, s7
	s_add_co_ci_u32 s10, s27, s3
	s_mul_i32 s24, s23, s25
	s_add_co_ci_u32 s25, s14, 0
	s_delay_alu instid0(SALU_CYCLE_1) | instskip(NEXT) | instid1(SALU_CYCLE_1)
	s_add_nc_u64 s[24:25], s[10:11], s[24:25]
	s_add_co_u32 s3, s22, s24
	s_cselect_b32 s7, -1, 0
	s_delay_alu instid0(SALU_CYCLE_1) | instskip(SKIP_2) | instid1(SALU_CYCLE_1)
	s_cmp_lg_u32 s7, 0
	s_add_co_ci_u32 s7, s23, s25
	s_ashr_i32 s22, s9, 31
	s_mov_b32 s23, s22
	s_delay_alu instid0(SALU_CYCLE_1) | instskip(NEXT) | instid1(SALU_CYCLE_1)
	s_add_nc_u64 s[24:25], s[8:9], s[22:23]
	s_xor_b64 s[24:25], s[24:25], s[22:23]
	s_delay_alu instid0(SALU_CYCLE_1)
	s_mul_hi_u32 s27, s24, s7
	s_mul_i32 s26, s24, s7
	s_mul_hi_u32 s10, s24, s3
	s_mul_hi_u32 s14, s25, s3
	s_mul_i32 s3, s25, s3
	s_add_nc_u64 s[26:27], s[10:11], s[26:27]
	s_mul_hi_u32 s9, s25, s7
	s_add_co_u32 s3, s26, s3
	s_add_co_ci_u32 s10, s27, s14
	s_mul_i32 s28, s25, s7
	s_add_co_ci_u32 s29, s9, 0
	s_delay_alu instid0(SALU_CYCLE_1) | instskip(NEXT) | instid1(SALU_CYCLE_1)
	s_add_nc_u64 s[26:27], s[10:11], s[28:29]
	s_and_b64 s[28:29], s[26:27], 0xffffffff00000000
	s_delay_alu instid0(SALU_CYCLE_1) | instskip(NEXT) | instid1(SALU_CYCLE_1)
	s_or_b32 s28, s28, s26
	s_mul_u64 s[26:27], s[12:13], s[28:29]
	s_add_nc_u64 s[30:31], s[28:29], 1
	s_sub_co_u32 s3, s24, s26
	s_cselect_b32 s7, -1, 0
	s_sub_co_i32 s9, s25, s27
	s_cmp_lg_u32 s7, 0
	s_add_nc_u64 s[34:35], s[28:29], 2
	s_sub_co_ci_u32 s9, s9, s13
	s_sub_co_u32 s10, s3, s12
	s_cselect_b32 s14, -1, 0
	s_delay_alu instid0(SALU_CYCLE_1) | instskip(SKIP_1) | instid1(SALU_CYCLE_1)
	s_cmp_lg_u32 s14, 0
	s_sub_co_ci_u32 s9, s9, 0
	s_cmp_ge_u32 s9, s13
	s_cselect_b32 s14, -1, 0
	s_cmp_ge_u32 s10, s12
	s_cselect_b32 s10, -1, 0
	s_cmp_eq_u32 s9, s13
	s_cselect_b32 s9, s10, s14
	s_delay_alu instid0(SALU_CYCLE_1) | instskip(SKIP_4) | instid1(SALU_CYCLE_1)
	s_cmp_lg_u32 s9, 0
	s_cselect_b32 s9, s34, s30
	s_cselect_b32 s10, s35, s31
	s_cmp_lg_u32 s7, 0
	s_sub_co_ci_u32 s7, s25, s27
	s_cmp_ge_u32 s7, s13
	s_cselect_b32 s14, -1, 0
	s_cmp_ge_u32 s3, s12
	s_cselect_b32 s3, -1, 0
	s_cmp_eq_u32 s7, s13
	s_cselect_b32 s3, s3, s14
	s_delay_alu instid0(SALU_CYCLE_1) | instskip(SKIP_3) | instid1(SALU_CYCLE_1)
	s_cmp_lg_u32 s3, 0
	s_cselect_b32 s13, s10, s29
	s_cselect_b32 s12, s9, s28
	s_xor_b64 s[22:23], s[22:23], 0
	s_xor_b64 s[12:13], s[12:13], s[22:23]
	s_delay_alu instid0(SALU_CYCLE_1)
	s_sub_nc_u64 s[24:25], s[12:13], s[22:23]
	s_load_b96 s[12:14], s[0:1], 0x44
	s_cbranch_execnz .LBB7_6
.LBB7_5:
	v_cvt_f32_u32_e32 v1, s16
	s_sub_co_i32 s7, 0, s16
	s_delay_alu instid0(VALU_DEP_1) | instskip(SKIP_1) | instid1(TRANS32_DEP_1)
	v_rcp_iflag_f32_e32 v1, v1
	v_nop
	v_mul_f32_e32 v1, 0x4f7ffffe, v1
	s_delay_alu instid0(VALU_DEP_1) | instskip(NEXT) | instid1(VALU_DEP_1)
	v_cvt_u32_f32_e32 v1, v1
	v_readfirstlane_b32 s3, v1
	s_mul_i32 s7, s7, s3
	s_delay_alu instid0(SALU_CYCLE_1) | instskip(NEXT) | instid1(SALU_CYCLE_1)
	s_mul_hi_u32 s7, s3, s7
	s_add_co_i32 s3, s3, s7
	s_delay_alu instid0(SALU_CYCLE_1) | instskip(NEXT) | instid1(SALU_CYCLE_1)
	s_mul_hi_u32 s3, s8, s3
	s_mul_i32 s7, s3, s16
	s_delay_alu instid0(SALU_CYCLE_1)
	s_sub_co_i32 s7, s8, s7
	s_add_co_i32 s8, s3, 1
	s_sub_co_i32 s9, s7, s16
	s_cmp_ge_u32 s7, s16
	s_cselect_b32 s3, s8, s3
	s_cselect_b32 s7, s9, s7
	s_add_co_i32 s8, s3, 1
	s_cmp_ge_u32 s7, s16
	s_cselect_b32 s24, s8, s3
.LBB7_6:
	s_delay_alu instid0(SALU_CYCLE_1)
	s_cmp_eq_u32 s20, s24
	s_mov_b64 s[8:9], 0xffffffff
	s_cselect_b32 s3, -1, 0
	s_and_b64 s[8:9], s[20:21], s[8:9]
	s_mov_b32 s23, 0
	s_wait_kmcnt 0x0
	s_mov_b32 s22, s12
	s_mov_b32 s25, s23
	s_mul_u64 s[10:11], s[8:9], s[22:23]
	s_delay_alu instid0(SALU_CYCLE_1) | instskip(SKIP_2) | instid1(SALU_CYCLE_1)
	s_add_co_i32 s7, s11, s20
	s_mul_u64 s[10:11], s[24:25], s[22:23]
	s_lshr_b32 s12, s7, s13
	s_mul_i32 s7, s12, s14
	s_delay_alu instid0(SALU_CYCLE_1) | instskip(SKIP_2) | instid1(SALU_CYCLE_1)
	s_cmp_eq_u32 s7, s20
	s_cselect_b32 s7, -1, 0
	s_add_co_i32 s10, s11, s24
	s_lshr_b32 s10, s10, s13
	s_delay_alu instid0(SALU_CYCLE_1)
	s_cmp_eq_u32 s12, s10
	s_mul_i32 s10, s10, s14
	s_cselect_b32 s11, -1, 0
	s_cmp_lg_u32 s10, s24
	s_cselect_b32 s10, -1, 0
	s_or_b32 s3, s3, s7
	s_and_b32 s10, s11, s10
	s_delay_alu instid0(SALU_CYCLE_1) | instskip(NEXT) | instid1(SALU_CYCLE_1)
	s_or_b32 s3, s3, s10
	s_and_b32 vcc_lo, exec_lo, s3
	s_cbranch_vccnz .LBB7_24
; %bb.7:
	s_load_b256 s[24:31], s[0:1], 0x20
	s_bfe_u32 s7, ttmp6, 0x40014
	s_bfe_u32 s33, ttmp6, 0x40010
	s_lshr_b32 s3, ttmp7, 16
	s_add_co_i32 s7, s7, 1
	s_and_b32 s21, ttmp7, 0xffff
	s_add_co_i32 s33, s33, 1
	s_bfe_u32 s10, ttmp6, 0x40008
	s_mul_i32 s7, s3, s7
	s_bfe_u32 s34, ttmp6, 0x40004
	s_mul_i32 s33, s21, s33
	s_mov_b32 s11, s23
	s_add_co_i32 s7, s10, s7
	s_add_co_i32 s34, s34, s33
	s_cmp_eq_u32 s15, 0
	s_cselect_b32 s15, s21, s34
	s_cselect_b32 s3, s3, s7
	s_wait_kmcnt 0x0
	s_mov_b32 s10, s24
	s_delay_alu instid0(SALU_CYCLE_1) | instskip(SKIP_2) | instid1(SALU_CYCLE_1)
	s_mul_u64 s[8:9], s[8:9], s[10:11]
	s_load_b32 s8, s[0:1], 0x40
	s_add_co_i32 s7, s9, s20
	s_lshr_b32 s7, s7, s25
	s_delay_alu instid0(SALU_CYCLE_1) | instskip(NEXT) | instid1(SALU_CYCLE_1)
	s_mul_i32 s9, s7, s26
	s_sub_co_i32 s9, s20, s9
	s_delay_alu instid0(SALU_CYCLE_1) | instskip(NEXT) | instid1(SALU_CYCLE_1)
	s_mul_hi_u32 s10, s9, s27
	s_add_co_i32 s10, s9, s10
	s_delay_alu instid0(SALU_CYCLE_1) | instskip(NEXT) | instid1(SALU_CYCLE_1)
	s_lshr_b32 s21, s10, s28
	s_mul_i32 s10, s21, s29
	s_delay_alu instid0(SALU_CYCLE_1) | instskip(NEXT) | instid1(SALU_CYCLE_1)
	s_sub_co_i32 s10, s9, s10
	s_mul_hi_u32 s9, s10, s30
	s_delay_alu instid0(SALU_CYCLE_1) | instskip(NEXT) | instid1(SALU_CYCLE_1)
	s_add_co_i32 s9, s10, s9
	s_lshr_b32 s24, s9, s31
	s_mov_b32 s9, s23
	s_wait_kmcnt 0x0
	s_mul_i32 s8, s24, s8
	s_delay_alu instid0(SALU_CYCLE_1) | instskip(NEXT) | instid1(SALU_CYCLE_1)
	s_sub_co_i32 s8, s10, s8
	s_mul_u64 s[10:11], s[8:9], s[22:23]
	s_delay_alu instid0(SALU_CYCLE_1) | instskip(NEXT) | instid1(SALU_CYCLE_1)
	s_add_co_i32 s8, s8, s11
	s_lshr_b32 s25, s8, s13
	s_delay_alu instid0(SALU_CYCLE_1) | instskip(NEXT) | instid1(SALU_CYCLE_1)
	s_lshl_b32 s8, s25, 5
	s_add_co_i32 s8, s8, s15
	s_delay_alu instid0(SALU_CYCLE_1) | instskip(SKIP_2) | instid1(SALU_CYCLE_1)
	s_cmp_lt_i32 s8, s4
	s_cselect_b32 s8, -1, 0
	s_add_co_i32 s9, s24, s3
	s_cmp_lt_i32 s9, s6
	s_cselect_b32 s9, -1, 0
	s_delay_alu instid0(SALU_CYCLE_1) | instskip(NEXT) | instid1(SALU_CYCLE_1)
	s_and_b32 s8, s8, s9
	s_and_not1_b32 vcc_lo, exec_lo, s8
	s_cbranch_vccnz .LBB7_24
; %bb.8:
	s_mul_i32 s4, s7, s4
	s_load_b128 s[8:11], s[0:1], 0x0
	s_wait_xcnt 0x0
	s_add_co_i32 s0, s4, s15
	s_mul_i32 s21, s21, s6
	s_mul_i32 s0, s0, s5
	;; [unrolled: 1-line block ×3, first 2 shown]
	s_add_co_i32 s0, s0, s3
	s_lshl_b32 s1, s1, 11
	s_add_co_i32 s0, s0, s21
	s_add_co_i32 s15, s15, s3
	;; [unrolled: 1-line block ×3, first 2 shown]
	v_lshl_or_b32 v6, s15, 6, v0
	s_lshl_b32 s0, s0, 6
	v_cvt_f32_u32_e32 v4, s16
	s_add_co_i32 s1, s1, s0
	s_lshl_b32 s24, s16, 7
	v_or_b32_e32 v2, s1, v0
	s_add_nc_u64 s[0:1], s[16:17], 0
	v_rcp_iflag_f32_e32 v4, v4
	s_xor_b64 s[6:7], s[0:1], 0
	s_lshl_b32 s0, s2, 5
	s_cvt_f32_u32 s3, s6
	s_add_co_i32 s0, s0, s15
	s_cvt_f32_u32 s4, s7
	s_ashr_i32 s1, s0, 31
	s_mov_b32 s25, 0
	s_lshl_b64 s[0:1], s[0:1], 3
	s_fmamk_f32 s3, s4, 0x4f800000, s3
	s_wait_kmcnt 0x0
	s_add_nc_u64 s[0:1], s[10:11], s[0:1]
	s_add_co_i32 s36, s2, -1
	s_load_b64 s[28:29], s[0:1], 0x0
	v_s_rcp_f32 s3, s3
	s_wait_xcnt 0x0
	s_lshl_b64 s[0:1], s[24:25], 2
	s_sub_nc_u64 s[34:35], 0, s[6:7]
	s_add_nc_u64 s[26:27], s[10:11], s[0:1]
	v_mul_f32_e32 v4, 0x4f7ffffe, v4
	s_delay_alu instid0(TRANS32_DEP_1) | instskip(NEXT) | instid1(VALU_DEP_1)
	s_mul_f32 s3, s3, 0x5f7ffffc
	v_cvt_u32_f32_e32 v7, v4
	s_delay_alu instid0(SALU_CYCLE_2) | instskip(NEXT) | instid1(SALU_CYCLE_3)
	s_mul_f32 s4, s3, 0x2f800000
	s_trunc_f32 s4, s4
	s_wait_kmcnt 0x0
	v_mov_b32_e32 v0, s29
	global_load_b32 v1, v2, s[8:9] scale_offset
	v_ashrrev_i32_e32 v3, 31, v2
	s_fmamk_f32 s0, s4, 0xcf800000, s3
	s_cvt_u32_f32 s31, s4
	s_wait_xcnt 0x0
	s_delay_alu instid0(VALU_DEP_1)
	v_lshl_add_u64 v[2:3], v[2:3], 2, s[8:9]
	s_cvt_u32_f32 s30, s0
	s_mov_b64 s[8:9], 0xffffffff
.LBB7_9:                                ; =>This Inner Loop Header: Depth=1
	s_ashr_i32 s37, s36, 31
                                        ; implicit-def: $sgpr40_sgpr41
	s_delay_alu instid0(SALU_CYCLE_1) | instskip(NEXT) | instid1(SALU_CYCLE_1)
	s_mul_u64 s[0:1], s[36:37], s[18:19]
	s_and_b64 s[2:3], s[0:1], 0xffffffff00000000
	s_delay_alu instid0(SALU_CYCLE_1)
	s_cmp_lg_u64 s[2:3], 0
	s_mov_b32 s2, -1
	s_cbranch_scc0 .LBB7_11
; %bb.10:                               ;   in Loop: Header=BB7_9 Depth=1
	s_mul_u64 s[2:3], s[34:35], s[30:31]
	s_delay_alu instid0(SALU_CYCLE_1)
	s_mul_hi_u32 s5, s30, s3
	s_mul_i32 s4, s30, s3
	s_mul_hi_u32 s24, s30, s2
	s_mul_hi_u32 s17, s31, s2
	s_add_nc_u64 s[4:5], s[24:25], s[4:5]
	s_mul_i32 s2, s31, s2
	s_mul_hi_u32 s21, s31, s3
	s_add_co_u32 s2, s4, s2
	s_add_co_ci_u32 s24, s5, s17
	s_add_co_ci_u32 s5, s21, 0
	s_mul_i32 s4, s31, s3
	s_delay_alu instid0(SALU_CYCLE_1) | instskip(NEXT) | instid1(SALU_CYCLE_1)
	s_add_nc_u64 s[2:3], s[24:25], s[4:5]
	s_add_co_u32 s2, s30, s2
	s_cselect_b32 s4, -1, 0
	s_delay_alu instid0(SALU_CYCLE_1) | instskip(SKIP_1) | instid1(SALU_CYCLE_1)
	s_cmp_lg_u32 s4, 0
	s_add_co_ci_u32 s3, s31, s3
	s_mul_u64 s[4:5], s[34:35], s[2:3]
	s_delay_alu instid0(SALU_CYCLE_1)
	s_mul_hi_u32 s39, s2, s5
	s_mul_i32 s38, s2, s5
	s_mul_hi_u32 s24, s2, s4
	s_mul_hi_u32 s17, s3, s4
	s_mul_i32 s4, s3, s4
	s_add_nc_u64 s[38:39], s[24:25], s[38:39]
	s_mul_hi_u32 s21, s3, s5
	s_add_co_u32 s4, s38, s4
	s_add_co_ci_u32 s24, s39, s17
	s_mul_i32 s4, s3, s5
	s_add_co_ci_u32 s5, s21, 0
	s_delay_alu instid0(SALU_CYCLE_1) | instskip(NEXT) | instid1(SALU_CYCLE_1)
	s_add_nc_u64 s[4:5], s[24:25], s[4:5]
	s_add_co_u32 s17, s2, s4
	s_cselect_b32 s2, -1, 0
	s_delay_alu instid0(SALU_CYCLE_1) | instskip(SKIP_2) | instid1(SALU_CYCLE_1)
	s_cmp_lg_u32 s2, 0
	s_add_co_ci_u32 s21, s3, s5
	s_ashr_i32 s2, s1, 31
	s_mov_b32 s3, s2
	s_delay_alu instid0(SALU_CYCLE_1) | instskip(NEXT) | instid1(SALU_CYCLE_1)
	s_add_nc_u64 s[4:5], s[0:1], s[2:3]
	s_xor_b64 s[4:5], s[4:5], s[2:3]
	s_delay_alu instid0(SALU_CYCLE_1)
	s_mul_hi_u32 s39, s4, s21
	s_mul_i32 s38, s4, s21
	s_mul_hi_u32 s24, s4, s17
	s_mul_hi_u32 s29, s5, s17
	s_mul_i32 s17, s5, s17
	s_add_nc_u64 s[38:39], s[24:25], s[38:39]
	s_mul_hi_u32 s1, s5, s21
	s_add_co_u32 s17, s38, s17
	s_add_co_ci_u32 s24, s39, s29
	s_mul_i32 s40, s5, s21
	s_add_co_ci_u32 s41, s1, 0
	s_delay_alu instid0(SALU_CYCLE_1) | instskip(NEXT) | instid1(SALU_CYCLE_1)
	s_add_nc_u64 s[38:39], s[24:25], s[40:41]
	s_and_b64 s[40:41], s[38:39], 0xffffffff00000000
	s_delay_alu instid0(SALU_CYCLE_1) | instskip(NEXT) | instid1(SALU_CYCLE_1)
	s_or_b32 s40, s40, s38
	s_mul_u64 s[38:39], s[6:7], s[40:41]
	s_add_nc_u64 s[42:43], s[40:41], 1
	s_sub_co_u32 s1, s4, s38
	s_cselect_b32 s4, -1, 0
	s_sub_co_i32 s17, s5, s39
	s_cmp_lg_u32 s4, 0
	s_add_nc_u64 s[44:45], s[40:41], 2
	s_sub_co_ci_u32 s17, s17, s7
	s_sub_co_u32 s21, s1, s6
	s_cselect_b32 s24, -1, 0
	s_delay_alu instid0(SALU_CYCLE_1) | instskip(SKIP_1) | instid1(SALU_CYCLE_1)
	s_cmp_lg_u32 s24, 0
	s_sub_co_ci_u32 s17, s17, 0
	s_cmp_ge_u32 s17, s7
	s_cselect_b32 s24, -1, 0
	s_cmp_ge_u32 s21, s6
	s_cselect_b32 s21, -1, 0
	s_cmp_eq_u32 s17, s7
	s_cselect_b32 s17, s21, s24
	s_delay_alu instid0(SALU_CYCLE_1) | instskip(SKIP_4) | instid1(SALU_CYCLE_1)
	s_cmp_lg_u32 s17, 0
	s_cselect_b32 s17, s44, s42
	s_cselect_b32 s21, s45, s43
	s_cmp_lg_u32 s4, 0
	s_sub_co_ci_u32 s4, s5, s39
	s_cmp_ge_u32 s4, s7
	s_cselect_b32 s5, -1, 0
	s_cmp_ge_u32 s1, s6
	s_cselect_b32 s1, -1, 0
	s_cmp_eq_u32 s4, s7
	s_cselect_b32 s1, s1, s5
	s_delay_alu instid0(SALU_CYCLE_1) | instskip(SKIP_3) | instid1(SALU_CYCLE_1)
	s_cmp_lg_u32 s1, 0
	s_cselect_b32 s5, s21, s41
	s_cselect_b32 s4, s17, s40
	s_xor_b64 s[2:3], s[2:3], 0
	s_xor_b64 s[4:5], s[4:5], s[2:3]
	s_delay_alu instid0(SALU_CYCLE_1)
	s_sub_nc_u64 s[40:41], s[4:5], s[2:3]
	s_mov_b32 s2, 0
.LBB7_11:                               ;   in Loop: Header=BB7_9 Depth=1
	s_delay_alu instid0(SALU_CYCLE_1)
	s_and_not1_b32 vcc_lo, exec_lo, s2
	s_cbranch_vccnz .LBB7_13
; %bb.12:                               ;   in Loop: Header=BB7_9 Depth=1
	v_readfirstlane_b32 s1, v7
	s_sub_co_i32 s2, 0, s16
	s_delay_alu instid0(SALU_CYCLE_1) | instskip(NEXT) | instid1(SALU_CYCLE_1)
	s_mul_i32 s2, s2, s1
	s_mul_hi_u32 s2, s1, s2
	s_delay_alu instid0(SALU_CYCLE_1) | instskip(NEXT) | instid1(SALU_CYCLE_1)
	s_add_co_i32 s1, s1, s2
	s_mul_hi_u32 s1, s0, s1
	s_delay_alu instid0(SALU_CYCLE_1) | instskip(NEXT) | instid1(SALU_CYCLE_1)
	s_mul_i32 s2, s1, s16
	s_sub_co_i32 s0, s0, s2
	s_add_co_i32 s2, s1, 1
	s_sub_co_i32 s3, s0, s16
	s_cmp_ge_u32 s0, s16
	s_cselect_b32 s1, s2, s1
	s_cselect_b32 s0, s3, s0
	s_add_co_i32 s2, s1, 1
	s_cmp_ge_u32 s0, s16
	s_cselect_b32 s24, s2, s1
	s_delay_alu instid0(SALU_CYCLE_1)
	s_mov_b64 s[40:41], s[24:25]
.LBB7_13:                               ;   in Loop: Header=BB7_9 Depth=1
	s_delay_alu instid0(SALU_CYCLE_1)
	s_cmp_lg_u32 s20, s40
	s_mov_b32 s0, -1
                                        ; implicit-def: $vgpr4_vgpr5
                                        ; implicit-def: $sgpr24
                                        ; implicit-def: $sgpr17
                                        ; implicit-def: $sgpr21
                                        ; implicit-def: $sgpr29
	s_cbranch_scc0 .LBB7_18
; %bb.14:                               ;   in Loop: Header=BB7_9 Depth=1
	s_add_co_i32 s0, s36, s16
	v_max_num_f32_e64 v4, s28, s28
	s_lshl_b32 s0, s0, 5
	s_mov_b32 s29, s20
	s_add_co_i32 s0, s0, s15
	s_load_b64 s[38:39], s[10:11], s0 offset:0x0 scale_offset
	s_wait_xcnt 0x0
	v_readfirstlane_b32 s0, v4
	s_wait_kmcnt 0x0
	v_max_num_f32_e64 v5, s38, s38
	s_delay_alu instid0(VALU_DEP_1) | instskip(SKIP_1) | instid1(SALU_CYCLE_3)
	v_readfirstlane_b32 s1, v5
	s_max_num_f32 s17, s0, s1
	s_sub_f32 s33, s28, s17
	s_sub_f32 s37, s38, s17
	s_delay_alu instid0(SALU_CYCLE_2)
	s_cmp_nlt_f32 s33, 0xc2ce8ed0
	s_cselect_b32 s1, -1, 0
	s_cmp_ngt_f32 s33, 0x42b17218
	s_cselect_b32 s2, -1, 0
	s_cmp_ge_f32 s33, 0xc1a00000
	s_cselect_b32 s0, -1, 0
	s_cmp_nlt_f32 s37, 0xc2ce8ed0
	s_cselect_b32 s3, -1, 0
	s_cmp_ngt_f32 s37, 0x42b17218
	s_cselect_b32 s4, -1, 0
	s_cmp_ge_f32 s37, 0xc1a00000
	s_cselect_b32 s5, -1, 0
	s_and_b64 s[42:43], s[40:41], s[8:9]
	s_delay_alu instid0(SALU_CYCLE_1) | instskip(NEXT) | instid1(SALU_CYCLE_1)
	s_mul_u64 s[42:43], s[42:43], s[22:23]
	s_add_co_i32 s21, s43, s40
	s_delay_alu instid0(SALU_CYCLE_1) | instskip(NEXT) | instid1(SALU_CYCLE_1)
	s_lshr_b32 s21, s21, s13
	s_mul_i32 s24, s21, s14
	s_delay_alu instid0(SALU_CYCLE_1) | instskip(SKIP_3) | instid1(SALU_CYCLE_1)
	s_cmp_eq_u32 s24, s40
	s_cselect_b32 s24, -1, 0
	s_cmp_lt_u32 s21, s12
	s_cselect_b32 s21, -1, 0
	s_or_b32 s21, s21, s24
	s_mov_b32 s24, -1
	s_and_b32 vcc_lo, exec_lo, s21
	s_mov_b32 s21, s36
	s_cbranch_vccnz .LBB7_16
; %bb.15:                               ;   in Loop: Header=BB7_9 Depth=1
	s_add_co_i32 s21, s36, -1
	s_mov_b32 s24, 0
	s_mov_b32 s29, s40
.LBB7_16:                               ;   in Loop: Header=BB7_9 Depth=1
	v_lshl_add_u32 v4, s36, 11, v6
	s_mul_f32 s40, s33, 0x3fb8aa3b
	s_mul_f32 s38, s37, 0x3fb8aa3b
	s_delay_alu instid0(SALU_CYCLE_2)
	s_xor_b32 s42, s40, 0x80000000
	global_load_b32 v5, v4, s[26:27] scale_offset
	s_fmamk_f32 s42, s33, 0x3fb8aa3b, s42
	s_rndne_f32 s44, s40
	s_xor_b32 s41, s38, 0x80000000
	s_rndne_f32 s43, s38
	s_fmamk_f32 s33, s33, 0x32a5705f, s42
	s_sub_f32 s40, s40, s44
	s_fmamk_f32 s41, s37, 0x3fb8aa3b, s41
	s_sub_f32 s38, s38, s43
	s_delay_alu instid0(SALU_CYCLE_1) | instskip(NEXT) | instid1(SALU_CYCLE_1)
	s_add_f32 s33, s40, s33
	s_fmamk_f32 s37, s37, 0x32a5705f, s41
	s_cvt_i32_f32 s40, s44
	s_delay_alu instid0(SALU_CYCLE_1) | instskip(NEXT) | instid1(SALU_CYCLE_1)
	v_s_exp_f32 s33, s33
	s_add_f32 s37, s38, s37
	s_cvt_i32_f32 s38, s43
	s_delay_alu instid0(SALU_CYCLE_2) | instskip(NEXT) | instid1(TRANS32_DEP_2)
	v_s_exp_f32 s37, s37
	v_ldexp_f32 v8, s33, s40
	s_wait_xcnt 0x0
	s_delay_alu instid0(TRANS32_DEP_1) | instskip(NEXT) | instid1(VALU_DEP_2)
	v_ldexp_f32 v4, s37, s38
	v_cndmask_b32_e64 v8, 0, v8, s1
	s_delay_alu instid0(VALU_DEP_1) | instskip(NEXT) | instid1(VALU_DEP_1)
	v_cndmask_b32_e64 v9, 0x7f800000, v8, s2
	v_dual_cndmask_b32 v4, 0, v4, s3 :: v_dual_cndmask_b32 v10, 0, v9, s0
	s_delay_alu instid0(VALU_DEP_1) | instskip(NEXT) | instid1(VALU_DEP_1)
	v_cndmask_b32_e64 v4, 0x7f800000, v4, s4
	v_dual_cndmask_b32 v8, 0, v4, s5 :: v_dual_mov_b32 v4, s39
	s_wait_loadcnt 0x0
	s_delay_alu instid0(VALU_DEP_1) | instskip(NEXT) | instid1(VALU_DEP_1)
	v_pk_mul_f32 v[4:5], v[4:5], v[8:9] op_sel_hi:[1,0]
	v_pk_fma_f32 v[4:5], v[0:1], v[10:11], v[4:5] op_sel_hi:[1,0,1]
	s_cbranch_execz .LBB7_19
.LBB7_17:                               ;   in Loop: Header=BB7_9 Depth=1
	s_and_not1_b32 vcc_lo, exec_lo, s24
	s_cbranch_vccnz .LBB7_20
	s_branch .LBB7_23
.LBB7_18:                               ;   in Loop: Header=BB7_9 Depth=1
	s_and_not1_b32 vcc_lo, exec_lo, s0
	s_cbranch_vccnz .LBB7_17
.LBB7_19:                               ;   in Loop: Header=BB7_9 Depth=1
	s_wait_loadcnt 0x0
	v_mov_b64_e32 v[4:5], v[0:1]
	s_add_co_i32 s21, s36, -1
	s_mov_b32 s29, s20
	s_mov_b32 s17, s28
	s_cbranch_execz .LBB7_23
.LBB7_20:                               ;   in Loop: Header=BB7_9 Depth=1
	s_wait_loadcnt 0x0
	s_delay_alu instid0(VALU_DEP_1)
	v_mov_b64_e32 v[0:1], v[4:5]
	s_mov_b32 s20, s29
	s_mov_b32 s36, s21
	s_mov_b32 s28, s17
	s_branch .LBB7_9
.LBB7_21:
                                        ; implicit-def: $sgpr20_sgpr21
	s_branch .LBB7_2
.LBB7_22:
                                        ; implicit-def: $sgpr24_sgpr25
	s_load_b96 s[12:14], s[0:1], 0x44
	s_branch .LBB7_5
.LBB7_23:
	s_delay_alu instid0(VALU_DEP_1) | instskip(SKIP_1) | instid1(VALU_DEP_1)
	v_div_scale_f32 v0, null, v4, v4, v5
	s_wait_loadcnt 0x0
	v_rcp_f32_e32 v1, v0
	v_nop
	s_delay_alu instid0(TRANS32_DEP_1) | instskip(NEXT) | instid1(VALU_DEP_1)
	v_fma_f32 v6, -v0, v1, 1.0
	v_fmac_f32_e32 v1, v6, v1
	v_div_scale_f32 v6, vcc_lo, v5, v4, v5
	s_delay_alu instid0(VALU_DEP_1) | instskip(NEXT) | instid1(VALU_DEP_1)
	v_mul_f32_e32 v7, v6, v1
	v_fma_f32 v8, -v0, v7, v6
	s_delay_alu instid0(VALU_DEP_1) | instskip(NEXT) | instid1(VALU_DEP_1)
	v_fmac_f32_e32 v7, v8, v1
	v_fma_f32 v0, -v0, v7, v6
	s_delay_alu instid0(VALU_DEP_1) | instskip(NEXT) | instid1(VALU_DEP_1)
	v_div_fmas_f32 v0, v0, v1, v7
	v_div_fixup_f32 v0, v0, v4, v5
	global_store_b32 v[2:3], v0, off
.LBB7_24:
	s_endpgm
	.section	.rodata,"a",@progbits
	.p2align	6, 0x0
	.amdhsa_kernel _ZL33flash_attn_stream_k_fixup_generalILi64ELi32ELi1EEvPfPK15HIP_vector_typeIfLj2EEiiiiS1_IjLj3EES5_S5_S5_
		.amdhsa_group_segment_fixed_size 0
		.amdhsa_private_segment_fixed_size 0
		.amdhsa_kernarg_size 336
		.amdhsa_user_sgpr_count 2
		.amdhsa_user_sgpr_dispatch_ptr 0
		.amdhsa_user_sgpr_queue_ptr 0
		.amdhsa_user_sgpr_kernarg_segment_ptr 1
		.amdhsa_user_sgpr_dispatch_id 0
		.amdhsa_user_sgpr_kernarg_preload_length 0
		.amdhsa_user_sgpr_kernarg_preload_offset 0
		.amdhsa_user_sgpr_private_segment_size 0
		.amdhsa_wavefront_size32 1
		.amdhsa_uses_dynamic_stack 0
		.amdhsa_enable_private_segment 0
		.amdhsa_system_sgpr_workgroup_id_x 1
		.amdhsa_system_sgpr_workgroup_id_y 1
		.amdhsa_system_sgpr_workgroup_id_z 1
		.amdhsa_system_sgpr_workgroup_info 0
		.amdhsa_system_vgpr_workitem_id 0
		.amdhsa_next_free_vgpr 12
		.amdhsa_next_free_sgpr 46
		.amdhsa_named_barrier_count 0
		.amdhsa_reserve_vcc 1
		.amdhsa_float_round_mode_32 0
		.amdhsa_float_round_mode_16_64 0
		.amdhsa_float_denorm_mode_32 3
		.amdhsa_float_denorm_mode_16_64 3
		.amdhsa_fp16_overflow 0
		.amdhsa_memory_ordered 1
		.amdhsa_forward_progress 1
		.amdhsa_inst_pref_size 27
		.amdhsa_round_robin_scheduling 0
		.amdhsa_exception_fp_ieee_invalid_op 0
		.amdhsa_exception_fp_denorm_src 0
		.amdhsa_exception_fp_ieee_div_zero 0
		.amdhsa_exception_fp_ieee_overflow 0
		.amdhsa_exception_fp_ieee_underflow 0
		.amdhsa_exception_fp_ieee_inexact 0
		.amdhsa_exception_int_div_zero 0
	.end_amdhsa_kernel
	.section	.text._ZL33flash_attn_stream_k_fixup_generalILi64ELi32ELi1EEvPfPK15HIP_vector_typeIfLj2EEiiiiS1_IjLj3EES5_S5_S5_,"axG",@progbits,_ZL33flash_attn_stream_k_fixup_generalILi64ELi32ELi1EEvPfPK15HIP_vector_typeIfLj2EEiiiiS1_IjLj3EES5_S5_S5_,comdat
.Lfunc_end7:
	.size	_ZL33flash_attn_stream_k_fixup_generalILi64ELi32ELi1EEvPfPK15HIP_vector_typeIfLj2EEiiiiS1_IjLj3EES5_S5_S5_, .Lfunc_end7-_ZL33flash_attn_stream_k_fixup_generalILi64ELi32ELi1EEvPfPK15HIP_vector_typeIfLj2EEiiiiS1_IjLj3EES5_S5_S5_
                                        ; -- End function
	.set _ZL33flash_attn_stream_k_fixup_generalILi64ELi32ELi1EEvPfPK15HIP_vector_typeIfLj2EEiiiiS1_IjLj3EES5_S5_S5_.num_vgpr, 12
	.set _ZL33flash_attn_stream_k_fixup_generalILi64ELi32ELi1EEvPfPK15HIP_vector_typeIfLj2EEiiiiS1_IjLj3EES5_S5_S5_.num_agpr, 0
	.set _ZL33flash_attn_stream_k_fixup_generalILi64ELi32ELi1EEvPfPK15HIP_vector_typeIfLj2EEiiiiS1_IjLj3EES5_S5_S5_.numbered_sgpr, 46
	.set _ZL33flash_attn_stream_k_fixup_generalILi64ELi32ELi1EEvPfPK15HIP_vector_typeIfLj2EEiiiiS1_IjLj3EES5_S5_S5_.num_named_barrier, 0
	.set _ZL33flash_attn_stream_k_fixup_generalILi64ELi32ELi1EEvPfPK15HIP_vector_typeIfLj2EEiiiiS1_IjLj3EES5_S5_S5_.private_seg_size, 0
	.set _ZL33flash_attn_stream_k_fixup_generalILi64ELi32ELi1EEvPfPK15HIP_vector_typeIfLj2EEiiiiS1_IjLj3EES5_S5_S5_.uses_vcc, 1
	.set _ZL33flash_attn_stream_k_fixup_generalILi64ELi32ELi1EEvPfPK15HIP_vector_typeIfLj2EEiiiiS1_IjLj3EES5_S5_S5_.uses_flat_scratch, 0
	.set _ZL33flash_attn_stream_k_fixup_generalILi64ELi32ELi1EEvPfPK15HIP_vector_typeIfLj2EEiiiiS1_IjLj3EES5_S5_S5_.has_dyn_sized_stack, 0
	.set _ZL33flash_attn_stream_k_fixup_generalILi64ELi32ELi1EEvPfPK15HIP_vector_typeIfLj2EEiiiiS1_IjLj3EES5_S5_S5_.has_recursion, 0
	.set _ZL33flash_attn_stream_k_fixup_generalILi64ELi32ELi1EEvPfPK15HIP_vector_typeIfLj2EEiiiiS1_IjLj3EES5_S5_S5_.has_indirect_call, 0
	.section	.AMDGPU.csdata,"",@progbits
; Kernel info:
; codeLenInByte = 3352
; TotalNumSgprs: 48
; NumVgprs: 12
; ScratchSize: 0
; MemoryBound: 0
; FloatMode: 240
; IeeeMode: 1
; LDSByteSize: 0 bytes/workgroup (compile time only)
; SGPRBlocks: 0
; VGPRBlocks: 0
; NumSGPRsForWavesPerEU: 48
; NumVGPRsForWavesPerEU: 12
; NamedBarCnt: 0
; Occupancy: 16
; WaveLimiterHint : 0
; COMPUTE_PGM_RSRC2:SCRATCH_EN: 0
; COMPUTE_PGM_RSRC2:USER_SGPR: 2
; COMPUTE_PGM_RSRC2:TRAP_HANDLER: 0
; COMPUTE_PGM_RSRC2:TGID_X_EN: 1
; COMPUTE_PGM_RSRC2:TGID_Y_EN: 1
; COMPUTE_PGM_RSRC2:TGID_Z_EN: 1
; COMPUTE_PGM_RSRC2:TIDIG_COMP_CNT: 0
	.section	.text._ZL26flash_attn_combine_resultsILi64EEvPKfPK15HIP_vector_typeIfLj2EEPfi,"axG",@progbits,_ZL26flash_attn_combine_resultsILi64EEvPKfPK15HIP_vector_typeIfLj2EEPfi,comdat
	.globl	_ZL26flash_attn_combine_resultsILi64EEvPKfPK15HIP_vector_typeIfLj2EEPfi ; -- Begin function _ZL26flash_attn_combine_resultsILi64EEvPKfPK15HIP_vector_typeIfLj2EEPfi
	.p2align	8
	.type	_ZL26flash_attn_combine_resultsILi64EEvPKfPK15HIP_vector_typeIfLj2EEPfi,@function
_ZL26flash_attn_combine_resultsILi64EEvPKfPK15HIP_vector_typeIfLj2EEPfi: ; @_ZL26flash_attn_combine_resultsILi64EEvPKfPK15HIP_vector_typeIfLj2EEPfi
; %bb.0:
	s_clause 0x2
	s_load_b128 s[4:7], s[0:1], 0x0
	s_load_b96 s[8:10], s[0:1], 0x10
	s_load_b64 s[2:3], s[0:1], 0x20
	s_bfe_u32 s11, ttmp6, 0x4000c
	s_wait_xcnt 0x0
	s_and_b32 s0, ttmp6, 15
	s_add_co_i32 s11, s11, 1
	s_and_b32 s12, ttmp7, 0xffff
	s_mul_i32 s1, ttmp9, s11
	s_bfe_u32 s11, ttmp6, 0x40010
	s_bfe_u32 s13, ttmp6, 0x40014
	s_add_co_i32 s11, s11, 1
	s_add_co_i32 s0, s0, s1
	s_mul_i32 s1, s12, s11
	s_bfe_u32 s11, ttmp6, 0x40004
	s_lshr_b32 s14, ttmp7, 16
	s_add_co_i32 s13, s13, 1
	s_add_co_i32 s11, s11, s1
	s_mul_i32 s1, s14, s13
	s_bfe_u32 s13, ttmp6, 0x40008
	s_getreg_b32 s15, hwreg(HW_REG_IB_STS2, 6, 4)
	s_add_co_i32 s13, s13, s1
	s_cmp_eq_u32 s15, 0
	v_mov_b32_e32 v2, v0
	s_cselect_b32 s1, s14, s13
	s_cselect_b32 s0, ttmp9, s0
	s_wait_kmcnt 0x0
	s_mul_i32 s1, s2, s1
	s_cselect_b32 s2, s12, s11
	s_add_co_i32 s0, s1, s0
	s_lshl_b32 s12, s10, 1
	s_mul_i32 s11, s0, s3
	s_mov_b32 s13, exec_lo
	s_add_co_i32 s11, s11, s2
	s_delay_alu instid0(SALU_CYCLE_1)
	s_mul_i32 s2, s11, s10
	v_cmpx_gt_i32_e64 s12, v0
	s_cbranch_execz .LBB8_13
; %bb.1:
	v_xad_u32 v1, v0, -1, s12
	s_ashr_i32 s3, s2, 31
	s_mov_b32 s0, -1
	s_mov_b32 s14, exec_lo
	s_delay_alu instid0(VALU_DEP_1)
	v_cmpx_lt_u32_e32 63, v1
	s_cbranch_execz .LBB8_10
; %bb.2:
	v_lshrrev_b32_e32 v6, 6, v1
	s_lshl_b64 s[0:1], s[2:3], 3
	v_or_b32_e32 v1, 64, v0
	s_add_nc_u64 s[0:1], s[6:7], s[0:1]
	s_delay_alu instid0(VALU_DEP_2) | instskip(NEXT) | instid1(VALU_DEP_1)
	v_add_nc_u32_e32 v2, -1, v6
	v_dual_mov_b32 v4, 0 :: v_dual_lshrrev_b32 v3, 1, v2
	v_cmp_lt_u32_e32 vcc_lo, 13, v2
	s_delay_alu instid0(VALU_DEP_2)
	v_add_nc_u32_e32 v7, 1, v3
	v_mov_b64_e32 v[2:3], v[0:1]
	s_and_saveexec_b32 s15, vcc_lo
	s_cbranch_execz .LBB8_6
; %bb.3:
	v_mov_b64_e32 v[2:3], v[0:1]
	v_dual_mov_b32 v5, 0 :: v_dual_bitop2_b32 v8, -8, v7 bitop3:0x40
	v_lshl_add_u32 v9, v0, 2, 0
	s_mov_b32 s16, 0
	s_mov_b32 s17, 0
.LBB8_4:                                ; =>This Inner Loop Header: Depth=1
	s_delay_alu instid0(VALU_DEP_2) | instskip(NEXT) | instid1(VALU_DEP_4)
	v_dual_mov_b32 v4, v2 :: v_dual_mov_b32 v11, v5
	v_dual_mov_b32 v13, v5 :: v_dual_add_nc_u32 v10, 0x80, v3
	v_dual_mov_b32 v15, v5 :: v_dual_add_nc_u32 v12, 0x100, v3
	s_delay_alu instid0(VALU_DEP_3) | instskip(SKIP_1) | instid1(VALU_DEP_4)
	v_lshl_add_u64 v[24:25], v[4:5], 2, s[0:1]
	v_dual_mov_b32 v4, v3 :: v_dual_add_nc_u32 v8, -8, v8
	v_lshl_add_u64 v[10:11], v[10:11], 2, s[0:1]
	v_dual_mov_b32 v17, v5 :: v_dual_add_nc_u32 v14, 0x180, v3
	s_delay_alu instid0(VALU_DEP_3)
	v_lshl_add_u64 v[26:27], v[4:5], 2, s[0:1]
	v_add_nc_u32_e32 v4, 0x80, v2
	global_load_b32 v1, v[24:25], off
	v_lshl_add_u64 v[12:13], v[12:13], 2, s[0:1]
	v_dual_mov_b32 v19, v5 :: v_dual_add_nc_u32 v16, 0x200, v3
	global_load_b32 v28, v[26:27], off
	s_wait_xcnt 0x1
	v_lshl_add_u64 v[24:25], v[4:5], 2, s[0:1]
	v_add_nc_u32_e32 v4, 0x100, v2
	s_clause 0x1
	global_load_b32 v29, v[24:25], off
	global_load_b32 v30, v[10:11], off
	s_wait_xcnt 0x2
	v_lshl_add_u64 v[26:27], v[4:5], 2, s[0:1]
	v_add_nc_u32_e32 v4, 0x180, v2
	s_clause 0x1
	global_load_b32 v24, v[26:27], off
	global_load_b32 v25, v[12:13], off
	s_wait_xcnt 0x2
	v_lshl_add_u64 v[10:11], v[4:5], 2, s[0:1]
	v_add_nc_u32_e32 v4, 0x200, v2
	v_lshl_add_u64 v[14:15], v[14:15], 2, s[0:1]
	s_clause 0x1
	global_load_b32 v26, v[10:11], off
	global_load_b32 v27, v[14:15], off
	s_wait_xcnt 0x2
	v_lshl_add_u64 v[12:13], v[4:5], 2, s[0:1]
	v_add_nc_u32_e32 v4, 0x280, v2
	v_dual_mov_b32 v21, v5 :: v_dual_add_nc_u32 v18, 0x280, v3
	v_lshl_add_u64 v[16:17], v[16:17], 2, s[0:1]
	v_dual_mov_b32 v23, v5 :: v_dual_add_nc_u32 v20, 0x300, v3
	s_wait_xcnt 0x1
	v_lshl_add_u64 v[10:11], v[4:5], 2, s[0:1]
	v_add_nc_u32_e32 v4, 0x300, v2
	s_clause 0x1
	global_load_b32 v14, v[12:13], off
	global_load_b32 v15, v[16:17], off
	v_add_nc_u32_e32 v22, 0x380, v3
	v_lshl_add_u64 v[18:19], v[18:19], 2, s[0:1]
	v_lshl_add_u64 v[20:21], v[20:21], 2, s[0:1]
	s_wait_xcnt 0x1
	v_lshl_add_u64 v[12:13], v[4:5], 2, s[0:1]
	v_add_nc_u32_e32 v4, 0x380, v2
	s_clause 0x1
	global_load_b32 v16, v[10:11], off
	global_load_b32 v17, v[18:19], off
	v_lshl_add_u64 v[22:23], v[22:23], 2, s[0:1]
	s_add_co_i32 s17, s17, 16
	v_cmp_eq_u32_e32 vcc_lo, 0, v8
	s_wait_xcnt 0x1
	v_lshl_add_u64 v[10:11], v[4:5], 2, s[0:1]
	s_clause 0x3
	global_load_b32 v18, v[12:13], off
	global_load_b32 v19, v[20:21], off
	;; [unrolled: 1-line block ×4, first 2 shown]
	v_dual_mov_b32 v4, s17 :: v_dual_add_nc_u32 v3, 0x400, v3
	v_add_nc_u32_e32 v2, 0x400, v2
	s_or_b32 s16, vcc_lo, s16
	s_wait_loadcnt 0xe
	ds_store_2addr_stride64_b32 v9, v1, v28 offset1:1
	s_wait_loadcnt 0xc
	ds_store_2addr_stride64_b32 v9, v29, v30 offset0:2 offset1:3
	s_wait_loadcnt 0xa
	ds_store_2addr_stride64_b32 v9, v24, v25 offset0:4 offset1:5
	;; [unrolled: 2-line block ×7, first 2 shown]
	v_add_nc_u32_e32 v9, 0x1000, v9
	s_wait_xcnt 0x0
	s_and_not1_b32 exec_lo, exec_lo, s16
	s_cbranch_execnz .LBB8_4
; %bb.5:
	s_or_b32 exec_lo, exec_lo, s16
.LBB8_6:
	s_delay_alu instid0(SALU_CYCLE_1) | instskip(SKIP_3) | instid1(VALU_DEP_1)
	s_or_b32 exec_lo, exec_lo, s15
	v_and_b32_e32 v1, 7, v7
	s_mov_b32 s16, 0
	s_mov_b32 s15, exec_lo
	v_cmpx_ne_u32_e32 0, v1
	s_cbranch_execz .LBB8_9
; %bb.7:
	v_lshlrev_b32_e32 v5, 2, v0
	s_delay_alu instid0(VALU_DEP_1) | instskip(NEXT) | instid1(VALU_DEP_1)
	v_lshl_or_b32 v4, v4, 8, v5
	v_dual_mov_b32 v5, 0 :: v_dual_add_nc_u32 v7, 0, v4
.LBB8_8:                                ; =>This Inner Loop Header: Depth=1
	v_dual_mov_b32 v4, v2 :: v_dual_add_nc_u32 v1, -1, v1
	v_add_nc_u32_e32 v2, 0x80, v2
	s_delay_alu instid0(VALU_DEP_2) | instskip(SKIP_1) | instid1(VALU_DEP_4)
	v_lshl_add_u64 v[8:9], v[4:5], 2, s[0:1]
	v_dual_mov_b32 v4, v3 :: v_dual_add_nc_u32 v3, 0x80, v3
	v_cmp_eq_u32_e32 vcc_lo, 0, v1
	s_delay_alu instid0(VALU_DEP_2)
	v_lshl_add_u64 v[10:11], v[4:5], 2, s[0:1]
	s_clause 0x1
	global_load_b32 v4, v[8:9], off
	global_load_b32 v12, v[10:11], off
	s_or_b32 s16, vcc_lo, s16
	s_wait_loadcnt 0x0
	ds_store_2addr_stride64_b32 v7, v4, v12 offset1:1
	v_add_nc_u32_e32 v7, 0x200, v7
	s_and_not1_b32 exec_lo, exec_lo, s16
	s_cbranch_execnz .LBB8_8
.LBB8_9:
	s_or_b32 exec_lo, exec_lo, s15
	v_add_nc_u32_e32 v1, 1, v6
	s_delay_alu instid0(VALU_DEP_1) | instskip(NEXT) | instid1(VALU_DEP_1)
	v_and_b32_e32 v2, 0x7fffffe, v1
	v_cmp_ne_u32_e32 vcc_lo, v1, v2
	v_lshl_or_b32 v2, v2, 6, v0
	s_or_not1_b32 s0, vcc_lo, exec_lo
.LBB8_10:
	s_or_b32 exec_lo, exec_lo, s14
	s_delay_alu instid0(SALU_CYCLE_1)
	s_and_b32 exec_lo, exec_lo, s0
	s_cbranch_execz .LBB8_13
; %bb.11:
	v_mov_b32_e32 v3, 0
	s_lshl_b64 s[0:1], s[2:3], 3
	v_lshl_add_u32 v1, v2, 2, 0
	s_add_nc_u64 s[0:1], s[6:7], s[0:1]
	s_delay_alu instid0(VALU_DEP_2) | instid1(SALU_CYCLE_1)
	v_lshl_add_u64 v[4:5], v[2:3], 2, s[0:1]
	s_mov_b32 s0, 0
.LBB8_12:                               ; =>This Inner Loop Header: Depth=1
	global_load_b32 v3, v[4:5], off
	v_add_nc_u32_e32 v2, 64, v2
	s_wait_xcnt 0x0
	v_add_nc_u64_e32 v[4:5], 0x100, v[4:5]
	s_delay_alu instid0(VALU_DEP_2)
	v_cmp_le_i32_e32 vcc_lo, s12, v2
	s_or_b32 s0, vcc_lo, s0
	s_wait_loadcnt 0x0
	ds_store_b32 v1, v3
	v_add_nc_u32_e32 v1, 0x100, v1
	s_and_not1_b32 exec_lo, exec_lo, s0
	s_cbranch_execnz .LBB8_12
.LBB8_13:
	s_or_b32 exec_lo, exec_lo, s13
	v_mov_b32_e32 v1, 0
	s_wait_dscnt 0x0
	s_barrier_signal -1
	s_barrier_wait -1
	ds_load_b32 v1, v1
	s_cmp_lt_i32 s10, 2
	s_wait_dscnt 0x0
	v_readfirstlane_b32 s3, v1
	s_cbranch_scc1 .LBB8_21
; %bb.14:
	s_cmp_eq_u32 s10, 2
	s_cbranch_scc1 .LBB8_18
; %bb.15:
	v_dual_mov_b32 v3, s3 :: v_dual_mov_b32 v4, s3
	s_add_co_i32 s1, s10, -1
	s_add_co_i32 s7, 0, 8
	s_and_b32 s3, s1, -2
	s_mov_b32 s6, 2
.LBB8_16:                               ; =>This Inner Loop Header: Depth=1
	v_dual_mov_b32 v1, s7 :: v_dual_mov_b32 v2, v3
	s_cmp_lg_u32 s3, s6
	s_cselect_b32 s12, -1, 0
	ds_load_2addr_b32 v[6:7], v1 offset1:2
	v_dual_mov_b32 v1, v4 :: v_dual_max_num_f32 v5, v2, v2
	s_delay_alu instid0(VALU_DEP_1)
	v_max_num_f32_e32 v3, v1, v1
	s_wait_dscnt 0x0
	v_cmp_u_f32_e32 vcc_lo, v7, v7
	v_max_num_f32_e32 v7, v7, v7
	v_cndmask_b32_e64 v4, 0, 1, vcc_lo
	v_cmp_u_f32_e32 vcc_lo, v6, v6
	v_max_num_f32_e32 v6, v6, v6
	s_delay_alu instid0(VALU_DEP_3) | instskip(SKIP_1) | instid1(VALU_DEP_3)
	v_readfirstlane_b32 s0, v4
	v_cndmask_b32_e64 v8, 0, 1, vcc_lo
	v_dual_max_num_f32 v4, v3, v7 :: v_dual_max_num_f32 v3, v5, v6
	s_lshl_b32 s0, s0, 1
	s_delay_alu instid0(VALU_DEP_2) | instskip(SKIP_1) | instid1(SALU_CYCLE_1)
	v_readfirstlane_b32 s13, v8
	s_or_b32 s0, s13, s0
	s_and_b32 s13, s0, 3
	s_delay_alu instid0(SALU_CYCLE_1)
	s_cmp_lg_u32 s13, 0
	s_cselect_b32 s0, -1, 0
	s_cmp_eq_u32 s13, 0
	s_cselect_b32 s13, -1, 0
	s_add_co_i32 s6, s6, 2
	s_and_b32 s12, s13, s12
	s_add_co_i32 s7, s7, 16
	s_and_b32 vcc_lo, exec_lo, s12
	s_cbranch_vccnz .LBB8_16
; %bb.17:
	v_dual_cndmask_b32 v2, v3, v2, s0 :: v_dual_cndmask_b32 v1, v4, v1, s0
	s_add_co_i32 s6, s6, -4
	s_and_b32 s7, s0, exec_lo
	s_cselect_b32 s6, s6, s1
	s_delay_alu instid0(VALU_DEP_1) | instskip(SKIP_3) | instid1(VALU_DEP_1)
	v_dual_max_num_f32 v2, v2, v2 :: v_dual_max_num_f32 v1, v1, v1
	s_or_b32 s6, s6, 1
	s_cmp_lg_u32 s1, s3
	s_cselect_b32 s1, -1, 0
	v_readfirstlane_b32 s7, v2
	v_readfirstlane_b32 s12, v1
	s_or_b32 s0, s1, s0
	s_max_num_f32 s3, s7, s12
	s_and_b32 vcc_lo, exec_lo, s0
	s_cbranch_vccnz .LBB8_19
	s_branch .LBB8_21
.LBB8_18:
	s_mov_b32 s6, 1
	s_cbranch_execz .LBB8_21
.LBB8_19:
	s_lshl_b32 s1, s6, 3
	s_sub_co_i32 s0, s10, s6
	s_add_co_i32 s1, s1, 0
.LBB8_20:                               ; =>This Inner Loop Header: Depth=1
	s_delay_alu instid0(SALU_CYCLE_1) | instskip(NEXT) | instid1(SALU_CYCLE_1)
	v_mov_b32_e32 v1, s1
	v_max_num_f32_e64 v2, s3, s3
	s_add_co_i32 s0, s0, -1
	s_add_co_i32 s1, s1, 8
	s_cmp_eq_u32 s0, 0
	ds_load_b32 v1, v1
	v_readfirstlane_b32 s3, v2
	s_wait_dscnt 0x0
	v_max_num_f32_e32 v1, v1, v1
	s_delay_alu instid0(VALU_DEP_1)
	v_readfirstlane_b32 s6, v1
	s_max_num_f32 s3, s3, s6
	s_cbranch_scc0 .LBB8_20
.LBB8_21:
	s_cmp_lt_i32 s10, 1
	s_cbranch_scc1 .LBB8_26
; %bb.22:
	s_lshl_b32 s0, s2, 6
	s_delay_alu instid0(SALU_CYCLE_1) | instskip(NEXT) | instid1(SALU_CYCLE_1)
	s_ashr_i32 s1, s0, 31
	s_lshl_b64 s[0:1], s[0:1], 2
	s_cmp_lt_u32 s10, 8
	s_add_nc_u64 s[0:1], s[4:5], s[0:1]
	s_cbranch_scc1 .LBB8_27
; %bb.23:
	v_mov_b32_e32 v2, 0
	v_or_b32_e32 v1, 0x1c0, v0
	s_and_b32 s2, s10, 0x7ffffff8
	s_mov_b32 s4, 0
	s_mov_b32 s5, 0
	v_mov_b32_e32 v3, v2
.LBB8_24:                               ; =>This Inner Loop Header: Depth=1
	v_add_nc_u32_e32 v4, 0xfffffe40, v1
	v_dual_mov_b32 v16, s5 :: v_dual_add_nc_u32 v5, 0xfffffe80, v1
	s_clause 0x1
	global_load_b32 v21, v4, s[0:1] scale_offset
	global_load_b32 v23, v5, s[0:1] scale_offset
	s_wait_xcnt 0x1
	v_add_nc_u32_e32 v4, 0xfffffec0, v1
	s_wait_xcnt 0x0
	v_add_nc_u32_e32 v5, 0xffffff00, v1
	s_clause 0x1
	global_load_b32 v25, v4, s[0:1] scale_offset
	global_load_b32 v27, v5, s[0:1] scale_offset
	s_wait_xcnt 0x1
	v_add_nc_u32_e32 v4, 0xffffff40, v1
	s_wait_xcnt 0x0
	v_add_nc_u32_e32 v5, 0xffffff80, v1
	global_load_b32 v29, v4, s[0:1] scale_offset
	s_wait_xcnt 0x0
	v_subrev_nc_u32_e32 v4, 64, v1
	s_clause 0x2
	global_load_b32 v31, v5, s[0:1] scale_offset
	global_load_b32 v33, v4, s[0:1] scale_offset
	;; [unrolled: 1-line block ×3, first 2 shown]
	s_wait_xcnt 0x1
	ds_load_2addr_b64 v[4:7], v16 offset1:1
	ds_load_2addr_b64 v[8:11], v16 offset0:2 offset1:3
	ds_load_2addr_b64 v[12:15], v16 offset0:4 offset1:5
	;; [unrolled: 1-line block ×3, first 2 shown]
	s_wait_xcnt 0x0
	v_add_nc_u32_e32 v1, 0x200, v1
	s_wait_dscnt 0x3
	v_readfirstlane_b32 s6, v4
	v_readfirstlane_b32 s7, v6
	s_wait_dscnt 0x2
	v_readfirstlane_b32 s12, v8
	v_dual_mov_b32 v20, v5 :: v_dual_mov_b32 v26, v11
	s_sub_f32 s6, s6, s3
	s_sub_f32 s7, s7, s3
	;; [unrolled: 1-line block ×3, first 2 shown]
	v_readfirstlane_b32 s13, v10
	s_mul_f32 s18, s6, 0x3fb8aa3b
	s_mul_f32 s19, s7, 0x3fb8aa3b
	;; [unrolled: 1-line block ×3, first 2 shown]
	s_wait_dscnt 0x1
	v_readfirstlane_b32 s14, v12
	s_xor_b32 s26, s18, 0x80000000
	s_rndne_f32 s27, s18
	s_fmamk_f32 s26, s6, 0x3fb8aa3b, s26
	s_cmp_nlt_f32 s6, 0xc2ce8ed0
	s_rndne_f32 s28, s19
	s_sub_f32 s18, s18, s27
	s_fmamk_f32 s26, s6, 0x32a5705f, s26
	s_cvt_i32_f32 s27, s27
	s_cselect_b32 vcc_lo, -1, 0
	s_cmp_ngt_f32 s6, 0x42b17218
	s_add_f32 s18, s18, s26
	s_sub_f32 s36, s19, s28
	s_cvt_i32_f32 s28, s28
	s_rndne_f32 s29, s20
	v_s_exp_f32 s18, s18
	s_sub_f32 s13, s13, s3
	s_sub_f32 s14, s14, s3
	;; [unrolled: 1-line block ×3, first 2 shown]
	s_cvt_i32_f32 s29, s29
	s_mul_f32 s21, s13, 0x3fb8aa3b
	s_mul_f32 s22, s14, 0x3fb8aa3b
	v_readfirstlane_b32 s15, v14
	v_ldexp_f32 v4, s18, s27
	s_wait_dscnt 0x0
	v_mov_b32_e32 v32, v17
	s_rndne_f32 s30, s21
	s_rndne_f32 s31, s22
	s_sub_f32 s15, s15, s3
	v_cndmask_b32_e32 v4, 0, v4, vcc_lo
	s_cselect_b32 vcc_lo, -1, 0
	s_xor_b32 s6, s19, 0x80000000
	s_cmp_nlt_f32 s7, 0xc2ce8ed0
	s_fmamk_f32 s6, s7, 0x3fb8aa3b, s6
	v_cndmask_b32_e32 v4, 0x7f800000, v4, vcc_lo
	s_sub_f32 s38, s21, s30
	s_cselect_b32 vcc_lo, -1, 0
	s_fmamk_f32 s6, s7, 0x32a5705f, s6
	s_cmp_ngt_f32 s7, 0x42b17218
	s_cvt_i32_f32 s30, s30
	s_sub_f32 s39, s22, s31
	s_add_f32 s6, s36, s6
	s_cvt_i32_f32 s31, s31
	s_mul_f32 s23, s15, 0x3fb8aa3b
	v_readfirstlane_b32 s16, v16
	v_s_exp_f32 s6, s6
	v_readfirstlane_b32 s17, v18
	s_rndne_f32 s33, s23
	v_mov_b32_e32 v22, v7
	s_sub_f32 s16, s16, s3
	v_mov_b32_e32 v34, v19
	s_sub_f32 s40, s23, s33
	s_cvt_i32_f32 s33, s33
	v_ldexp_f32 v5, s6, s28
	s_mul_f32 s24, s16, 0x3fb8aa3b
	s_sub_f32 s17, s17, s3
	v_dual_mov_b32 v24, v9 :: v_dual_mov_b32 v28, v13
	s_delay_alu instid0(VALU_DEP_2)
	v_dual_mov_b32 v30, v15 :: v_dual_cndmask_b32 v5, 0, v5
	s_cselect_b32 vcc_lo, -1, 0
	s_xor_b32 s6, s20, 0x80000000
	s_cmp_nlt_f32 s12, 0xc2ce8ed0
	s_fmamk_f32 s6, s12, 0x3fb8aa3b, s6
	v_cndmask_b32_e32 v6, 0x7f800000, v5, vcc_lo
	s_rndne_f32 s34, s24
	s_cselect_b32 vcc_lo, -1, 0
	s_fmamk_f32 s6, s12, 0x32a5705f, s6
	s_cmp_ngt_f32 s12, 0x42b17218
	s_sub_f32 s41, s24, s34
	s_cvt_i32_f32 s34, s34
	s_add_f32 s6, s37, s6
	s_mul_f32 s25, s17, 0x3fb8aa3b
	s_delay_alu instid0(SALU_CYCLE_2) | instskip(NEXT) | instid1(SALU_CYCLE_2)
	v_s_exp_f32 s6, s6
	s_rndne_f32 s35, s25
	s_delay_alu instid0(SALU_CYCLE_3) | instskip(SKIP_2) | instid1(TRANS32_DEP_1)
	s_sub_f32 s42, s25, s35
	s_cvt_i32_f32 s35, s35
	v_nop
	v_ldexp_f32 v5, s6, s29
	s_delay_alu instid0(VALU_DEP_1)
	v_cndmask_b32_e32 v5, 0, v5, vcc_lo
	s_cselect_b32 vcc_lo, -1, 0
	s_xor_b32 s6, s21, 0x80000000
	s_cmp_nlt_f32 s13, 0xc2ce8ed0
	s_fmamk_f32 s6, s13, 0x3fb8aa3b, s6
	v_cndmask_b32_e32 v8, 0x7f800000, v5, vcc_lo
	s_cselect_b32 vcc_lo, -1, 0
	s_delay_alu instid0(SALU_CYCLE_1) | instskip(SKIP_1) | instid1(SALU_CYCLE_2)
	s_fmamk_f32 s6, s13, 0x32a5705f, s6
	s_cmp_ngt_f32 s13, 0x42b17218
	s_add_f32 s6, s38, s6
	s_delay_alu instid0(SALU_CYCLE_3) | instskip(SKIP_1) | instid1(TRANS32_DEP_1)
	v_s_exp_f32 s6, s6
	v_nop
	v_ldexp_f32 v5, s6, s30
	s_delay_alu instid0(VALU_DEP_1)
	v_cndmask_b32_e32 v5, 0, v5, vcc_lo
	s_cselect_b32 vcc_lo, -1, 0
	s_xor_b32 s6, s22, 0x80000000
	s_cmp_nlt_f32 s14, 0xc2ce8ed0
	s_fmamk_f32 s6, s14, 0x3fb8aa3b, s6
	v_cndmask_b32_e32 v10, 0x7f800000, v5, vcc_lo
	s_cselect_b32 vcc_lo, -1, 0
	s_delay_alu instid0(SALU_CYCLE_1) | instskip(SKIP_1) | instid1(SALU_CYCLE_2)
	s_fmamk_f32 s6, s14, 0x32a5705f, s6
	s_cmp_ngt_f32 s14, 0x42b17218
	s_add_f32 s6, s39, s6
	s_delay_alu instid0(SALU_CYCLE_3) | instskip(SKIP_1) | instid1(TRANS32_DEP_1)
	v_s_exp_f32 s6, s6
	;; [unrolled: 16-line block ×4, first 2 shown]
	v_nop
	v_ldexp_f32 v5, s6, s34
	s_delay_alu instid0(VALU_DEP_1) | instskip(SKIP_4) | instid1(SALU_CYCLE_3)
	v_cndmask_b32_e32 v5, 0, v5, vcc_lo
	s_cselect_b32 vcc_lo, -1, 0
	s_xor_b32 s6, s25, 0x80000000
	s_cmp_nlt_f32 s17, 0xc2ce8ed0
	s_fmamk_f32 s6, s17, 0x3fb8aa3b, s6
	s_fmamk_f32 s6, s17, 0x32a5705f, s6
	s_delay_alu instid0(SALU_CYCLE_3) | instskip(NEXT) | instid1(SALU_CYCLE_3)
	s_add_f32 s6, s42, s6
	v_s_exp_f32 s6, s6
	s_wait_loadcnt 0x7
	v_pk_fma_f32 v[2:3], v[4:5], v[20:21], v[2:3] op_sel_hi:[0,1,1]
	v_cndmask_b32_e32 v4, 0x7f800000, v5, vcc_lo
	s_delay_alu instid0(TRANS32_DEP_1)
	v_ldexp_f32 v5, s6, s35
	s_cselect_b32 vcc_lo, -1, 0
	s_cmp_ngt_f32 s17, 0x42b17218
	s_wait_loadcnt 0x6
	v_pk_fma_f32 v[2:3], v[6:7], v[22:23], v[2:3] op_sel_hi:[0,1,1]
	v_cndmask_b32_e32 v5, 0, v5, vcc_lo
	s_cselect_b32 vcc_lo, -1, 0
	s_add_co_i32 s4, s4, 8
	s_wait_loadcnt 0x5
	v_pk_fma_f32 v[2:3], v[8:9], v[24:25], v[2:3] op_sel_hi:[0,1,1]
	s_add_co_i32 s5, s5, 64
	v_cndmask_b32_e32 v6, 0x7f800000, v5, vcc_lo
	s_cmp_eq_u32 s2, s4
	s_wait_loadcnt 0x4
	v_pk_fma_f32 v[2:3], v[10:11], v[26:27], v[2:3] op_sel_hi:[0,1,1]
	s_wait_loadcnt 0x3
	s_delay_alu instid0(VALU_DEP_1) | instskip(SKIP_1) | instid1(VALU_DEP_1)
	v_pk_fma_f32 v[2:3], v[12:13], v[28:29], v[2:3] op_sel_hi:[0,1,1]
	s_wait_loadcnt 0x2
	v_pk_fma_f32 v[2:3], v[14:15], v[30:31], v[2:3] op_sel_hi:[0,1,1]
	s_wait_loadcnt 0x1
	s_delay_alu instid0(VALU_DEP_1) | instskip(SKIP_1) | instid1(VALU_DEP_1)
	v_pk_fma_f32 v[2:3], v[4:5], v[32:33], v[2:3] op_sel_hi:[0,1,1]
	s_wait_loadcnt 0x0
	v_pk_fma_f32 v[2:3], v[6:7], v[34:35], v[2:3] op_sel_hi:[0,1,1]
	s_cbranch_scc0 .LBB8_24
; %bb.25:
	s_and_b32 s4, s10, 7
	s_delay_alu instid0(SALU_CYCLE_1)
	s_cmp_eq_u32 s4, 0
	s_cbranch_scc0 .LBB8_28
	s_branch .LBB8_30
.LBB8_26:
	v_mov_b32_e32 v1, 0x7fc00000
	s_branch .LBB8_31
.LBB8_27:
	v_mov_b64_e32 v[2:3], 0
	s_mov_b32 s2, 0
	s_and_b32 s4, s10, 7
	s_delay_alu instid0(SALU_CYCLE_1)
	s_cmp_eq_u32 s4, 0
	s_cbranch_scc1 .LBB8_30
.LBB8_28:
	v_lshl_or_b32 v1, s2, 6, v0
	s_lshl_b32 s2, s2, 3
	s_delay_alu instid0(SALU_CYCLE_1)
	s_add_co_i32 s2, s2, 0
.LBB8_29:                               ; =>This Inner Loop Header: Depth=1
	global_load_b32 v5, v1, s[0:1] scale_offset
	s_wait_xcnt 0x0
	v_dual_mov_b32 v4, s2 :: v_dual_add_nc_u32 v1, 64, v1
	ds_load_b64 v[6:7], v4
	s_wait_dscnt 0x0
	v_readfirstlane_b32 s5, v6
	s_sub_f32 s5, s5, s3
	s_delay_alu instid0(SALU_CYCLE_3) | instskip(NEXT) | instid1(SALU_CYCLE_3)
	s_mul_f32 s6, s5, 0x3fb8aa3b
	s_xor_b32 s7, s6, 0x80000000
	s_rndne_f32 s10, s6
	s_fmamk_f32 s7, s5, 0x3fb8aa3b, s7
	s_cmp_nlt_f32 s5, 0xc2ce8ed0
	s_delay_alu instid0(SALU_CYCLE_1) | instskip(NEXT) | instid1(SALU_CYCLE_1)
	s_sub_f32 s6, s6, s10
	s_fmamk_f32 s7, s5, 0x32a5705f, s7
	s_cselect_b32 vcc_lo, -1, 0
	s_cmp_ngt_f32 s5, 0x42b17218
	s_delay_alu instid0(SALU_CYCLE_1) | instskip(SKIP_1) | instid1(SALU_CYCLE_2)
	s_add_f32 s6, s6, s7
	s_cvt_i32_f32 s7, s10
	v_s_exp_f32 s6, s6
	v_nop
	s_delay_alu instid0(TRANS32_DEP_1) | instid1(SALU_CYCLE_1)
	v_ldexp_f32 v4, s6, s7
	s_delay_alu instid0(VALU_DEP_1) | instskip(SKIP_3) | instid1(VALU_DEP_1)
	v_dual_cndmask_b32 v6, 0, v4, vcc_lo :: v_dual_mov_b32 v4, v7
	s_cselect_b32 vcc_lo, -1, 0
	s_add_co_i32 s4, s4, -1
	s_add_co_i32 s2, s2, 8
	v_cndmask_b32_e32 v6, 0x7f800000, v6, vcc_lo
	s_cmp_lg_u32 s4, 0
	s_wait_loadcnt 0x0
	s_delay_alu instid0(VALU_DEP_1)
	v_pk_fma_f32 v[2:3], v[6:7], v[4:5], v[2:3] op_sel_hi:[0,1,1]
	s_cbranch_scc1 .LBB8_29
.LBB8_30:
	s_delay_alu instid0(VALU_DEP_1) | instskip(NEXT) | instid1(VALU_DEP_1)
	v_div_scale_f32 v1, null, v2, v2, v3
	v_rcp_f32_e32 v4, v1
	v_nop
	s_delay_alu instid0(TRANS32_DEP_1) | instskip(NEXT) | instid1(VALU_DEP_1)
	v_fma_f32 v5, -v1, v4, 1.0
	v_fmac_f32_e32 v4, v5, v4
	v_div_scale_f32 v5, vcc_lo, v3, v2, v3
	s_delay_alu instid0(VALU_DEP_1) | instskip(NEXT) | instid1(VALU_DEP_1)
	v_mul_f32_e32 v6, v5, v4
	v_fma_f32 v7, -v1, v6, v5
	s_delay_alu instid0(VALU_DEP_1) | instskip(NEXT) | instid1(VALU_DEP_1)
	v_fmac_f32_e32 v6, v7, v4
	v_fma_f32 v1, -v1, v6, v5
	s_delay_alu instid0(VALU_DEP_1) | instskip(NEXT) | instid1(VALU_DEP_1)
	v_div_fmas_f32 v1, v1, v4, v6
	v_div_fixup_f32 v1, v1, v2, v3
.LBB8_31:
	s_lshl_b32 s0, s11, 6
	s_delay_alu instid0(SALU_CYCLE_1) | instskip(NEXT) | instid1(SALU_CYCLE_1)
	s_ashr_i32 s1, s0, 31
	s_lshl_b64 s[0:1], s[0:1], 2
	s_delay_alu instid0(SALU_CYCLE_1)
	s_add_nc_u64 s[0:1], s[8:9], s[0:1]
	global_store_b32 v0, v1, s[0:1] scale_offset
	s_endpgm
	.section	.rodata,"a",@progbits
	.p2align	6, 0x0
	.amdhsa_kernel _ZL26flash_attn_combine_resultsILi64EEvPKfPK15HIP_vector_typeIfLj2EEPfi
		.amdhsa_group_segment_fixed_size 0
		.amdhsa_private_segment_fixed_size 0
		.amdhsa_kernarg_size 288
		.amdhsa_user_sgpr_count 2
		.amdhsa_user_sgpr_dispatch_ptr 0
		.amdhsa_user_sgpr_queue_ptr 0
		.amdhsa_user_sgpr_kernarg_segment_ptr 1
		.amdhsa_user_sgpr_dispatch_id 0
		.amdhsa_user_sgpr_kernarg_preload_length 0
		.amdhsa_user_sgpr_kernarg_preload_offset 0
		.amdhsa_user_sgpr_private_segment_size 0
		.amdhsa_wavefront_size32 1
		.amdhsa_uses_dynamic_stack 0
		.amdhsa_enable_private_segment 0
		.amdhsa_system_sgpr_workgroup_id_x 1
		.amdhsa_system_sgpr_workgroup_id_y 1
		.amdhsa_system_sgpr_workgroup_id_z 1
		.amdhsa_system_sgpr_workgroup_info 0
		.amdhsa_system_vgpr_workitem_id 0
		.amdhsa_next_free_vgpr 36
		.amdhsa_next_free_sgpr 43
		.amdhsa_named_barrier_count 0
		.amdhsa_reserve_vcc 1
		.amdhsa_float_round_mode_32 0
		.amdhsa_float_round_mode_16_64 0
		.amdhsa_float_denorm_mode_32 3
		.amdhsa_float_denorm_mode_16_64 3
		.amdhsa_fp16_overflow 0
		.amdhsa_memory_ordered 1
		.amdhsa_forward_progress 1
		.amdhsa_inst_pref_size 28
		.amdhsa_round_robin_scheduling 0
		.amdhsa_exception_fp_ieee_invalid_op 0
		.amdhsa_exception_fp_denorm_src 0
		.amdhsa_exception_fp_ieee_div_zero 0
		.amdhsa_exception_fp_ieee_overflow 0
		.amdhsa_exception_fp_ieee_underflow 0
		.amdhsa_exception_fp_ieee_inexact 0
		.amdhsa_exception_int_div_zero 0
	.end_amdhsa_kernel
	.section	.text._ZL26flash_attn_combine_resultsILi64EEvPKfPK15HIP_vector_typeIfLj2EEPfi,"axG",@progbits,_ZL26flash_attn_combine_resultsILi64EEvPKfPK15HIP_vector_typeIfLj2EEPfi,comdat
.Lfunc_end8:
	.size	_ZL26flash_attn_combine_resultsILi64EEvPKfPK15HIP_vector_typeIfLj2EEPfi, .Lfunc_end8-_ZL26flash_attn_combine_resultsILi64EEvPKfPK15HIP_vector_typeIfLj2EEPfi
                                        ; -- End function
	.set _ZL26flash_attn_combine_resultsILi64EEvPKfPK15HIP_vector_typeIfLj2EEPfi.num_vgpr, 36
	.set _ZL26flash_attn_combine_resultsILi64EEvPKfPK15HIP_vector_typeIfLj2EEPfi.num_agpr, 0
	.set _ZL26flash_attn_combine_resultsILi64EEvPKfPK15HIP_vector_typeIfLj2EEPfi.numbered_sgpr, 43
	.set _ZL26flash_attn_combine_resultsILi64EEvPKfPK15HIP_vector_typeIfLj2EEPfi.num_named_barrier, 0
	.set _ZL26flash_attn_combine_resultsILi64EEvPKfPK15HIP_vector_typeIfLj2EEPfi.private_seg_size, 0
	.set _ZL26flash_attn_combine_resultsILi64EEvPKfPK15HIP_vector_typeIfLj2EEPfi.uses_vcc, 1
	.set _ZL26flash_attn_combine_resultsILi64EEvPKfPK15HIP_vector_typeIfLj2EEPfi.uses_flat_scratch, 0
	.set _ZL26flash_attn_combine_resultsILi64EEvPKfPK15HIP_vector_typeIfLj2EEPfi.has_dyn_sized_stack, 0
	.set _ZL26flash_attn_combine_resultsILi64EEvPKfPK15HIP_vector_typeIfLj2EEPfi.has_recursion, 0
	.set _ZL26flash_attn_combine_resultsILi64EEvPKfPK15HIP_vector_typeIfLj2EEPfi.has_indirect_call, 0
	.section	.AMDGPU.csdata,"",@progbits
; Kernel info:
; codeLenInByte = 3580
; TotalNumSgprs: 45
; NumVgprs: 36
; ScratchSize: 0
; MemoryBound: 0
; FloatMode: 240
; IeeeMode: 1
; LDSByteSize: 0 bytes/workgroup (compile time only)
; SGPRBlocks: 0
; VGPRBlocks: 2
; NumSGPRsForWavesPerEU: 45
; NumVGPRsForWavesPerEU: 36
; NamedBarCnt: 0
; Occupancy: 16
; WaveLimiterHint : 0
; COMPUTE_PGM_RSRC2:SCRATCH_EN: 0
; COMPUTE_PGM_RSRC2:USER_SGPR: 2
; COMPUTE_PGM_RSRC2:TRAP_HANDLER: 0
; COMPUTE_PGM_RSRC2:TGID_X_EN: 1
; COMPUTE_PGM_RSRC2:TGID_Y_EN: 1
; COMPUTE_PGM_RSRC2:TGID_Z_EN: 1
; COMPUTE_PGM_RSRC2:TIDIG_COMP_CNT: 0
	.section	.text._ZL18flash_attn_ext_f16ILi80ELi80ELi32ELi1ELb0ELb0EEvPKcS1_S1_S1_S1_PKiPfP15HIP_vector_typeIfLj2EEffffjfiS5_IjLj3EEiiiiiiiiiiiliiliiiiil,"axG",@progbits,_ZL18flash_attn_ext_f16ILi80ELi80ELi32ELi1ELb0ELb0EEvPKcS1_S1_S1_S1_PKiPfP15HIP_vector_typeIfLj2EEffffjfiS5_IjLj3EEiiiiiiiiiiiliiliiiiil,comdat
	.globl	_ZL18flash_attn_ext_f16ILi80ELi80ELi32ELi1ELb0ELb0EEvPKcS1_S1_S1_S1_PKiPfP15HIP_vector_typeIfLj2EEffffjfiS5_IjLj3EEiiiiiiiiiiiliiliiiiil ; -- Begin function _ZL18flash_attn_ext_f16ILi80ELi80ELi32ELi1ELb0ELb0EEvPKcS1_S1_S1_S1_PKiPfP15HIP_vector_typeIfLj2EEffffjfiS5_IjLj3EEiiiiiiiiiiiliiliiiiil
	.p2align	8
	.type	_ZL18flash_attn_ext_f16ILi80ELi80ELi32ELi1ELb0ELb0EEvPKcS1_S1_S1_S1_PKiPfP15HIP_vector_typeIfLj2EEffffjfiS5_IjLj3EEiiiiiiiiiiiliiliiiiil,@function
_ZL18flash_attn_ext_f16ILi80ELi80ELi32ELi1ELb0ELb0EEvPKcS1_S1_S1_S1_PKiPfP15HIP_vector_typeIfLj2EEffffjfiS5_IjLj3EEiiiiiiiiiiiliiliiiiil: ; @_ZL18flash_attn_ext_f16ILi80ELi80ELi32ELi1ELb0ELb0EEvPKcS1_S1_S1_S1_PKiPfP15HIP_vector_typeIfLj2EEffffjfiS5_IjLj3EEiiiiiiiiiiiliiliiiiil
; %bb.0:
	v_mov_b32_e32 v0, 0x6e3
	s_add_nc_u64 s[8:9], s[0:1], 0xd0
	s_get_pc_i64 s[0:1]
	s_add_nc_u64 s[0:1], s[0:1], _ZL14no_device_codePKciS0_iS0_@rel64+4
	s_mov_b32 s32, 0
	s_swap_pc_i64 s[30:31], s[0:1]
	.section	.rodata,"a",@progbits
	.p2align	6, 0x0
	.amdhsa_kernel _ZL18flash_attn_ext_f16ILi80ELi80ELi32ELi1ELb0ELb0EEvPKcS1_S1_S1_S1_PKiPfP15HIP_vector_typeIfLj2EEffffjfiS5_IjLj3EEiiiiiiiiiiiliiliiiiil
		.amdhsa_group_segment_fixed_size 0
		.amdhsa_private_segment_fixed_size 16
		.amdhsa_kernarg_size 464
		.amdhsa_user_sgpr_count 2
		.amdhsa_user_sgpr_dispatch_ptr 0
		.amdhsa_user_sgpr_queue_ptr 0
		.amdhsa_user_sgpr_kernarg_segment_ptr 1
		.amdhsa_user_sgpr_dispatch_id 0
		.amdhsa_user_sgpr_kernarg_preload_length 0
		.amdhsa_user_sgpr_kernarg_preload_offset 0
		.amdhsa_user_sgpr_private_segment_size 0
		.amdhsa_wavefront_size32 1
		.amdhsa_uses_dynamic_stack 0
		.amdhsa_enable_private_segment 1
		.amdhsa_system_sgpr_workgroup_id_x 1
		.amdhsa_system_sgpr_workgroup_id_y 0
		.amdhsa_system_sgpr_workgroup_id_z 0
		.amdhsa_system_sgpr_workgroup_info 0
		.amdhsa_system_vgpr_workitem_id 0
		.amdhsa_next_free_vgpr 50
		.amdhsa_next_free_sgpr 34
		.amdhsa_named_barrier_count 0
		.amdhsa_reserve_vcc 1
		.amdhsa_float_round_mode_32 0
		.amdhsa_float_round_mode_16_64 0
		.amdhsa_float_denorm_mode_32 3
		.amdhsa_float_denorm_mode_16_64 3
		.amdhsa_fp16_overflow 0
		.amdhsa_memory_ordered 1
		.amdhsa_forward_progress 1
		.amdhsa_inst_pref_size 1
		.amdhsa_round_robin_scheduling 0
		.amdhsa_exception_fp_ieee_invalid_op 0
		.amdhsa_exception_fp_denorm_src 0
		.amdhsa_exception_fp_ieee_div_zero 0
		.amdhsa_exception_fp_ieee_overflow 0
		.amdhsa_exception_fp_ieee_underflow 0
		.amdhsa_exception_fp_ieee_inexact 0
		.amdhsa_exception_int_div_zero 0
	.end_amdhsa_kernel
	.section	.text._ZL18flash_attn_ext_f16ILi80ELi80ELi32ELi1ELb0ELb0EEvPKcS1_S1_S1_S1_PKiPfP15HIP_vector_typeIfLj2EEffffjfiS5_IjLj3EEiiiiiiiiiiiliiliiiiil,"axG",@progbits,_ZL18flash_attn_ext_f16ILi80ELi80ELi32ELi1ELb0ELb0EEvPKcS1_S1_S1_S1_PKiPfP15HIP_vector_typeIfLj2EEffffjfiS5_IjLj3EEiiiiiiiiiiiliiliiiiil,comdat
.Lfunc_end9:
	.size	_ZL18flash_attn_ext_f16ILi80ELi80ELi32ELi1ELb0ELb0EEvPKcS1_S1_S1_S1_PKiPfP15HIP_vector_typeIfLj2EEffffjfiS5_IjLj3EEiiiiiiiiiiiliiliiiiil, .Lfunc_end9-_ZL18flash_attn_ext_f16ILi80ELi80ELi32ELi1ELb0ELb0EEvPKcS1_S1_S1_S1_PKiPfP15HIP_vector_typeIfLj2EEffffjfiS5_IjLj3EEiiiiiiiiiiiliiliiiiil
                                        ; -- End function
	.set _ZL18flash_attn_ext_f16ILi80ELi80ELi32ELi1ELb0ELb0EEvPKcS1_S1_S1_S1_PKiPfP15HIP_vector_typeIfLj2EEffffjfiS5_IjLj3EEiiiiiiiiiiiliiliiiiil.num_vgpr, max(1, .L_ZL14no_device_codePKciS0_iS0_.num_vgpr)
	.set _ZL18flash_attn_ext_f16ILi80ELi80ELi32ELi1ELb0ELb0EEvPKcS1_S1_S1_S1_PKiPfP15HIP_vector_typeIfLj2EEffffjfiS5_IjLj3EEiiiiiiiiiiiliiliiiiil.num_agpr, max(0, .L_ZL14no_device_codePKciS0_iS0_.num_agpr)
	.set _ZL18flash_attn_ext_f16ILi80ELi80ELi32ELi1ELb0ELb0EEvPKcS1_S1_S1_S1_PKiPfP15HIP_vector_typeIfLj2EEffffjfiS5_IjLj3EEiiiiiiiiiiiliiliiiiil.numbered_sgpr, max(33, .L_ZL14no_device_codePKciS0_iS0_.numbered_sgpr)
	.set _ZL18flash_attn_ext_f16ILi80ELi80ELi32ELi1ELb0ELb0EEvPKcS1_S1_S1_S1_PKiPfP15HIP_vector_typeIfLj2EEffffjfiS5_IjLj3EEiiiiiiiiiiiliiliiiiil.num_named_barrier, max(0, .L_ZL14no_device_codePKciS0_iS0_.num_named_barrier)
	.set _ZL18flash_attn_ext_f16ILi80ELi80ELi32ELi1ELb0ELb0EEvPKcS1_S1_S1_S1_PKiPfP15HIP_vector_typeIfLj2EEffffjfiS5_IjLj3EEiiiiiiiiiiiliiliiiiil.private_seg_size, 0+max(.L_ZL14no_device_codePKciS0_iS0_.private_seg_size)
	.set _ZL18flash_attn_ext_f16ILi80ELi80ELi32ELi1ELb0ELb0EEvPKcS1_S1_S1_S1_PKiPfP15HIP_vector_typeIfLj2EEffffjfiS5_IjLj3EEiiiiiiiiiiiliiliiiiil.uses_vcc, or(1, .L_ZL14no_device_codePKciS0_iS0_.uses_vcc)
	.set _ZL18flash_attn_ext_f16ILi80ELi80ELi32ELi1ELb0ELb0EEvPKcS1_S1_S1_S1_PKiPfP15HIP_vector_typeIfLj2EEffffjfiS5_IjLj3EEiiiiiiiiiiiliiliiiiil.uses_flat_scratch, or(0, .L_ZL14no_device_codePKciS0_iS0_.uses_flat_scratch)
	.set _ZL18flash_attn_ext_f16ILi80ELi80ELi32ELi1ELb0ELb0EEvPKcS1_S1_S1_S1_PKiPfP15HIP_vector_typeIfLj2EEffffjfiS5_IjLj3EEiiiiiiiiiiiliiliiiiil.has_dyn_sized_stack, or(0, .L_ZL14no_device_codePKciS0_iS0_.has_dyn_sized_stack)
	.set _ZL18flash_attn_ext_f16ILi80ELi80ELi32ELi1ELb0ELb0EEvPKcS1_S1_S1_S1_PKiPfP15HIP_vector_typeIfLj2EEffffjfiS5_IjLj3EEiiiiiiiiiiiliiliiiiil.has_recursion, or(0, .L_ZL14no_device_codePKciS0_iS0_.has_recursion)
	.set _ZL18flash_attn_ext_f16ILi80ELi80ELi32ELi1ELb0ELb0EEvPKcS1_S1_S1_S1_PKiPfP15HIP_vector_typeIfLj2EEffffjfiS5_IjLj3EEiiiiiiiiiiiliiliiiiil.has_indirect_call, or(0, .L_ZL14no_device_codePKciS0_iS0_.has_indirect_call)
	.section	.AMDGPU.csdata,"",@progbits
; Kernel info:
; codeLenInByte = 40
; TotalNumSgprs: 36
; NumVgprs: 50
; ScratchSize: 16
; MemoryBound: 0
; FloatMode: 240
; IeeeMode: 1
; LDSByteSize: 0 bytes/workgroup (compile time only)
; SGPRBlocks: 0
; VGPRBlocks: 3
; NumSGPRsForWavesPerEU: 36
; NumVGPRsForWavesPerEU: 50
; NamedBarCnt: 0
; Occupancy: 16
; WaveLimiterHint : 1
; COMPUTE_PGM_RSRC2:SCRATCH_EN: 1
; COMPUTE_PGM_RSRC2:USER_SGPR: 2
; COMPUTE_PGM_RSRC2:TRAP_HANDLER: 0
; COMPUTE_PGM_RSRC2:TGID_X_EN: 1
; COMPUTE_PGM_RSRC2:TGID_Y_EN: 0
; COMPUTE_PGM_RSRC2:TGID_Z_EN: 0
; COMPUTE_PGM_RSRC2:TIDIG_COMP_CNT: 0
	.section	.text._ZL18flash_attn_ext_f16ILi80ELi80ELi32ELi1ELb1ELb0EEvPKcS1_S1_S1_S1_PKiPfP15HIP_vector_typeIfLj2EEffffjfiS5_IjLj3EEiiiiiiiiiiiliiliiiiil,"axG",@progbits,_ZL18flash_attn_ext_f16ILi80ELi80ELi32ELi1ELb1ELb0EEvPKcS1_S1_S1_S1_PKiPfP15HIP_vector_typeIfLj2EEffffjfiS5_IjLj3EEiiiiiiiiiiiliiliiiiil,comdat
	.globl	_ZL18flash_attn_ext_f16ILi80ELi80ELi32ELi1ELb1ELb0EEvPKcS1_S1_S1_S1_PKiPfP15HIP_vector_typeIfLj2EEffffjfiS5_IjLj3EEiiiiiiiiiiiliiliiiiil ; -- Begin function _ZL18flash_attn_ext_f16ILi80ELi80ELi32ELi1ELb1ELb0EEvPKcS1_S1_S1_S1_PKiPfP15HIP_vector_typeIfLj2EEffffjfiS5_IjLj3EEiiiiiiiiiiiliiliiiiil
	.p2align	8
	.type	_ZL18flash_attn_ext_f16ILi80ELi80ELi32ELi1ELb1ELb0EEvPKcS1_S1_S1_S1_PKiPfP15HIP_vector_typeIfLj2EEffffjfiS5_IjLj3EEiiiiiiiiiiiliiliiiiil,@function
_ZL18flash_attn_ext_f16ILi80ELi80ELi32ELi1ELb1ELb0EEvPKcS1_S1_S1_S1_PKiPfP15HIP_vector_typeIfLj2EEffffjfiS5_IjLj3EEiiiiiiiiiiiliiliiiiil: ; @_ZL18flash_attn_ext_f16ILi80ELi80ELi32ELi1ELb1ELb0EEvPKcS1_S1_S1_S1_PKiPfP15HIP_vector_typeIfLj2EEffffjfiS5_IjLj3EEiiiiiiiiiiiliiliiiiil
; %bb.0:
	v_mov_b32_e32 v0, 0x6cc
	s_add_nc_u64 s[8:9], s[0:1], 0xd0
	s_get_pc_i64 s[0:1]
	s_add_nc_u64 s[0:1], s[0:1], _ZL14no_device_codePKciS0_iS0_@rel64+4
	s_mov_b32 s32, 0
	s_swap_pc_i64 s[30:31], s[0:1]
	.section	.rodata,"a",@progbits
	.p2align	6, 0x0
	.amdhsa_kernel _ZL18flash_attn_ext_f16ILi80ELi80ELi32ELi1ELb1ELb0EEvPKcS1_S1_S1_S1_PKiPfP15HIP_vector_typeIfLj2EEffffjfiS5_IjLj3EEiiiiiiiiiiiliiliiiiil
		.amdhsa_group_segment_fixed_size 0
		.amdhsa_private_segment_fixed_size 16
		.amdhsa_kernarg_size 464
		.amdhsa_user_sgpr_count 2
		.amdhsa_user_sgpr_dispatch_ptr 0
		.amdhsa_user_sgpr_queue_ptr 0
		.amdhsa_user_sgpr_kernarg_segment_ptr 1
		.amdhsa_user_sgpr_dispatch_id 0
		.amdhsa_user_sgpr_kernarg_preload_length 0
		.amdhsa_user_sgpr_kernarg_preload_offset 0
		.amdhsa_user_sgpr_private_segment_size 0
		.amdhsa_wavefront_size32 1
		.amdhsa_uses_dynamic_stack 0
		.amdhsa_enable_private_segment 1
		.amdhsa_system_sgpr_workgroup_id_x 1
		.amdhsa_system_sgpr_workgroup_id_y 0
		.amdhsa_system_sgpr_workgroup_id_z 0
		.amdhsa_system_sgpr_workgroup_info 0
		.amdhsa_system_vgpr_workitem_id 0
		.amdhsa_next_free_vgpr 50
		.amdhsa_next_free_sgpr 34
		.amdhsa_named_barrier_count 0
		.amdhsa_reserve_vcc 1
		.amdhsa_float_round_mode_32 0
		.amdhsa_float_round_mode_16_64 0
		.amdhsa_float_denorm_mode_32 3
		.amdhsa_float_denorm_mode_16_64 3
		.amdhsa_fp16_overflow 0
		.amdhsa_memory_ordered 1
		.amdhsa_forward_progress 1
		.amdhsa_inst_pref_size 1
		.amdhsa_round_robin_scheduling 0
		.amdhsa_exception_fp_ieee_invalid_op 0
		.amdhsa_exception_fp_denorm_src 0
		.amdhsa_exception_fp_ieee_div_zero 0
		.amdhsa_exception_fp_ieee_overflow 0
		.amdhsa_exception_fp_ieee_underflow 0
		.amdhsa_exception_fp_ieee_inexact 0
		.amdhsa_exception_int_div_zero 0
	.end_amdhsa_kernel
	.section	.text._ZL18flash_attn_ext_f16ILi80ELi80ELi32ELi1ELb1ELb0EEvPKcS1_S1_S1_S1_PKiPfP15HIP_vector_typeIfLj2EEffffjfiS5_IjLj3EEiiiiiiiiiiiliiliiiiil,"axG",@progbits,_ZL18flash_attn_ext_f16ILi80ELi80ELi32ELi1ELb1ELb0EEvPKcS1_S1_S1_S1_PKiPfP15HIP_vector_typeIfLj2EEffffjfiS5_IjLj3EEiiiiiiiiiiiliiliiiiil,comdat
.Lfunc_end10:
	.size	_ZL18flash_attn_ext_f16ILi80ELi80ELi32ELi1ELb1ELb0EEvPKcS1_S1_S1_S1_PKiPfP15HIP_vector_typeIfLj2EEffffjfiS5_IjLj3EEiiiiiiiiiiiliiliiiiil, .Lfunc_end10-_ZL18flash_attn_ext_f16ILi80ELi80ELi32ELi1ELb1ELb0EEvPKcS1_S1_S1_S1_PKiPfP15HIP_vector_typeIfLj2EEffffjfiS5_IjLj3EEiiiiiiiiiiiliiliiiiil
                                        ; -- End function
	.set _ZL18flash_attn_ext_f16ILi80ELi80ELi32ELi1ELb1ELb0EEvPKcS1_S1_S1_S1_PKiPfP15HIP_vector_typeIfLj2EEffffjfiS5_IjLj3EEiiiiiiiiiiiliiliiiiil.num_vgpr, max(1, .L_ZL14no_device_codePKciS0_iS0_.num_vgpr)
	.set _ZL18flash_attn_ext_f16ILi80ELi80ELi32ELi1ELb1ELb0EEvPKcS1_S1_S1_S1_PKiPfP15HIP_vector_typeIfLj2EEffffjfiS5_IjLj3EEiiiiiiiiiiiliiliiiiil.num_agpr, max(0, .L_ZL14no_device_codePKciS0_iS0_.num_agpr)
	.set _ZL18flash_attn_ext_f16ILi80ELi80ELi32ELi1ELb1ELb0EEvPKcS1_S1_S1_S1_PKiPfP15HIP_vector_typeIfLj2EEffffjfiS5_IjLj3EEiiiiiiiiiiiliiliiiiil.numbered_sgpr, max(33, .L_ZL14no_device_codePKciS0_iS0_.numbered_sgpr)
	.set _ZL18flash_attn_ext_f16ILi80ELi80ELi32ELi1ELb1ELb0EEvPKcS1_S1_S1_S1_PKiPfP15HIP_vector_typeIfLj2EEffffjfiS5_IjLj3EEiiiiiiiiiiiliiliiiiil.num_named_barrier, max(0, .L_ZL14no_device_codePKciS0_iS0_.num_named_barrier)
	.set _ZL18flash_attn_ext_f16ILi80ELi80ELi32ELi1ELb1ELb0EEvPKcS1_S1_S1_S1_PKiPfP15HIP_vector_typeIfLj2EEffffjfiS5_IjLj3EEiiiiiiiiiiiliiliiiiil.private_seg_size, 0+max(.L_ZL14no_device_codePKciS0_iS0_.private_seg_size)
	.set _ZL18flash_attn_ext_f16ILi80ELi80ELi32ELi1ELb1ELb0EEvPKcS1_S1_S1_S1_PKiPfP15HIP_vector_typeIfLj2EEffffjfiS5_IjLj3EEiiiiiiiiiiiliiliiiiil.uses_vcc, or(1, .L_ZL14no_device_codePKciS0_iS0_.uses_vcc)
	.set _ZL18flash_attn_ext_f16ILi80ELi80ELi32ELi1ELb1ELb0EEvPKcS1_S1_S1_S1_PKiPfP15HIP_vector_typeIfLj2EEffffjfiS5_IjLj3EEiiiiiiiiiiiliiliiiiil.uses_flat_scratch, or(0, .L_ZL14no_device_codePKciS0_iS0_.uses_flat_scratch)
	.set _ZL18flash_attn_ext_f16ILi80ELi80ELi32ELi1ELb1ELb0EEvPKcS1_S1_S1_S1_PKiPfP15HIP_vector_typeIfLj2EEffffjfiS5_IjLj3EEiiiiiiiiiiiliiliiiiil.has_dyn_sized_stack, or(0, .L_ZL14no_device_codePKciS0_iS0_.has_dyn_sized_stack)
	.set _ZL18flash_attn_ext_f16ILi80ELi80ELi32ELi1ELb1ELb0EEvPKcS1_S1_S1_S1_PKiPfP15HIP_vector_typeIfLj2EEffffjfiS5_IjLj3EEiiiiiiiiiiiliiliiiiil.has_recursion, or(0, .L_ZL14no_device_codePKciS0_iS0_.has_recursion)
	.set _ZL18flash_attn_ext_f16ILi80ELi80ELi32ELi1ELb1ELb0EEvPKcS1_S1_S1_S1_PKiPfP15HIP_vector_typeIfLj2EEffffjfiS5_IjLj3EEiiiiiiiiiiiliiliiiiil.has_indirect_call, or(0, .L_ZL14no_device_codePKciS0_iS0_.has_indirect_call)
	.section	.AMDGPU.csdata,"",@progbits
; Kernel info:
; codeLenInByte = 40
; TotalNumSgprs: 36
; NumVgprs: 50
; ScratchSize: 16
; MemoryBound: 0
; FloatMode: 240
; IeeeMode: 1
; LDSByteSize: 0 bytes/workgroup (compile time only)
; SGPRBlocks: 0
; VGPRBlocks: 3
; NumSGPRsForWavesPerEU: 36
; NumVGPRsForWavesPerEU: 50
; NamedBarCnt: 0
; Occupancy: 16
; WaveLimiterHint : 1
; COMPUTE_PGM_RSRC2:SCRATCH_EN: 1
; COMPUTE_PGM_RSRC2:USER_SGPR: 2
; COMPUTE_PGM_RSRC2:TRAP_HANDLER: 0
; COMPUTE_PGM_RSRC2:TGID_X_EN: 1
; COMPUTE_PGM_RSRC2:TGID_Y_EN: 0
; COMPUTE_PGM_RSRC2:TGID_Z_EN: 0
; COMPUTE_PGM_RSRC2:TIDIG_COMP_CNT: 0
	.section	.text._ZL33flash_attn_stream_k_fixup_uniformILi80ELi32ELi1EEvPfPK15HIP_vector_typeIfLj2EEiiiiiiS1_IjLj3EES5_S5_,"axG",@progbits,_ZL33flash_attn_stream_k_fixup_uniformILi80ELi32ELi1EEvPfPK15HIP_vector_typeIfLj2EEiiiiiiS1_IjLj3EES5_S5_,comdat
	.globl	_ZL33flash_attn_stream_k_fixup_uniformILi80ELi32ELi1EEvPfPK15HIP_vector_typeIfLj2EEiiiiiiS1_IjLj3EES5_S5_ ; -- Begin function _ZL33flash_attn_stream_k_fixup_uniformILi80ELi32ELi1EEvPfPK15HIP_vector_typeIfLj2EEiiiiiiS1_IjLj3EES5_S5_
	.p2align	8
	.type	_ZL33flash_attn_stream_k_fixup_uniformILi80ELi32ELi1EEvPfPK15HIP_vector_typeIfLj2EEiiiiiiS1_IjLj3EES5_S5_,@function
_ZL33flash_attn_stream_k_fixup_uniformILi80ELi32ELi1EEvPfPK15HIP_vector_typeIfLj2EEiiiiiiS1_IjLj3EES5_S5_: ; @_ZL33flash_attn_stream_k_fixup_uniformILi80ELi32ELi1EEvPfPK15HIP_vector_typeIfLj2EEiiiiiiS1_IjLj3EES5_S5_
; %bb.0:
	s_load_b256 s[4:11], s[0:1], 0x1c
	s_bfe_u32 s2, ttmp6, 0x40014
	s_lshr_b32 s3, ttmp7, 16
	s_add_co_i32 s2, s2, 1
	s_bfe_u32 s13, ttmp6, 0x40010
	s_mul_i32 s2, s3, s2
	s_bfe_u32 s12, ttmp6, 0x40008
	s_and_b32 s14, ttmp7, 0xffff
	s_add_co_i32 s13, s13, 1
	s_bfe_u32 s15, ttmp6, 0x4000c
	s_add_co_i32 s2, s12, s2
	s_mul_i32 s12, s14, s13
	s_bfe_u32 s13, ttmp6, 0x40004
	s_add_co_i32 s15, s15, 1
	s_add_co_i32 s13, s13, s12
	s_and_b32 s12, ttmp6, 15
	s_mul_i32 s15, ttmp9, s15
	s_getreg_b32 s20, hwreg(HW_REG_IB_STS2, 6, 4)
	s_add_co_i32 s12, s12, s15
	s_load_b128 s[16:19], s[0:1], 0x3c
	s_cmp_eq_u32 s20, 0
	s_cselect_b32 s12, ttmp9, s12
	s_cselect_b32 s13, s14, s13
	s_wait_kmcnt 0x0
	s_mul_hi_u32 s7, s7, s12
	s_cselect_b32 s14, s3, s2
	s_add_co_i32 s2, s12, s7
	s_delay_alu instid0(SALU_CYCLE_1) | instskip(NEXT) | instid1(SALU_CYCLE_1)
	s_lshr_b32 s7, s2, s8
	s_mul_i32 s2, s7, s9
	s_delay_alu instid0(SALU_CYCLE_1) | instskip(NEXT) | instid1(SALU_CYCLE_1)
	s_sub_co_i32 s8, s12, s2
	s_mul_hi_u32 s2, s8, s10
	s_delay_alu instid0(SALU_CYCLE_1) | instskip(SKIP_2) | instid1(SALU_CYCLE_1)
	s_add_co_i32 s9, s8, s2
	s_load_b64 s[2:3], s[0:1], 0x10
	s_lshr_b32 s15, s9, s11
	s_mul_i32 s9, s15, s16
	s_delay_alu instid0(SALU_CYCLE_1) | instskip(NEXT) | instid1(SALU_CYCLE_1)
	s_sub_co_i32 s8, s8, s9
	s_mul_hi_u32 s9, s8, s17
	s_delay_alu instid0(SALU_CYCLE_1) | instskip(NEXT) | instid1(SALU_CYCLE_1)
	s_add_co_i32 s9, s8, s9
	s_lshr_b32 s17, s9, s18
	s_delay_alu instid0(SALU_CYCLE_1) | instskip(NEXT) | instid1(SALU_CYCLE_1)
	s_mul_i32 s9, s17, s19
	s_sub_co_i32 s16, s8, s9
	s_delay_alu instid0(SALU_CYCLE_1) | instskip(NEXT) | instid1(SALU_CYCLE_1)
	s_lshl_b32 s8, s16, 5
	s_add_co_i32 s8, s8, s13
	s_wait_kmcnt 0x0
	s_cmp_lt_i32 s8, s2
	s_cselect_b32 s8, -1, 0
	s_add_co_i32 s17, s17, s14
	s_delay_alu instid0(SALU_CYCLE_1) | instskip(SKIP_1) | instid1(SALU_CYCLE_1)
	s_cmp_lt_i32 s17, s5
	s_cselect_b32 s9, -1, 0
	s_and_b32 s8, s8, s9
	s_delay_alu instid0(SALU_CYCLE_1)
	s_and_not1_b32 vcc_lo, exec_lo, s8
	s_cbranch_vccnz .LBB11_6
; %bb.1:
	s_load_b128 s[8:11], s[0:1], 0x0
	s_wait_xcnt 0x0
	s_mul_i32 s0, s7, s2
	s_mul_i32 s15, s15, s5
	s_add_co_i32 s0, s0, s13
	s_add_co_i32 s1, s17, s15
	s_mul_i32 s0, s0, s3
	s_mul_i32 s2, s3, s16
	s_add_co_i32 s0, s1, s0
	s_mulk_i32 s2, 0xa00
	s_mulk_i32 s0, 0x50
	s_mul_i32 s7, s6, s12
	v_add3_u32 v4, s0, s2, v0
	s_add_co_i32 s5, s7, s6
	s_add_co_i32 s13, s13, s14
	s_lshl_b32 s0, s5, 5
	s_add_co_i32 s2, s5, -2
	s_add_co_i32 s0, s13, s0
	v_ashrrev_i32_e32 v5, 31, v4
	s_sub_co_i32 s0, s0, 32
	s_delay_alu instid0(SALU_CYCLE_1)
	s_ashr_i32 s1, s0, 31
	s_wait_kmcnt 0x0
	global_load_b32 v3, v4, s[8:9] scale_offset
	s_lshl_b64 s[0:1], s[0:1], 3
	s_cmp_lt_i32 s2, s7
	s_add_nc_u64 s[0:1], s[10:11], s[0:1]
	s_load_b32 s14, s[0:1], 0x4
	s_cbranch_scc1 .LBB11_4
; %bb.2:
	s_wait_xcnt 0x0
	s_load_b32 s0, s[0:1], 0x0
	s_add_co_i32 s12, s12, 1
	s_lshl_b32 s2, s4, 7
	s_wait_xcnt 0x0
	s_mul_i32 s1, s6, s12
	s_mul_i32 s6, s13, 0x50
	s_lshl_b32 s12, s1, 5
	s_mulk_i32 s1, 0xa00
	s_ashr_i32 s3, s2, 31
	s_add_co_i32 s6, s6, s1
	s_add_co_i32 s12, s13, s12
	s_lshl_b32 s1, s4, 5
	v_add3_u32 v0, s6, v0, 0xffffec00
	s_wait_kmcnt 0x0
	v_mov_b32_e32 v2, s14
	s_lshl_b64 s[2:3], s[2:3], 2
	s_add_co_i32 s12, s12, s1
	s_add_nc_u64 s[2:3], s[10:11], s[2:3]
	s_add_co_i32 s1, s5, -1
	s_sub_co_i32 s4, s12, 64
.LBB11_3:                               ; =>This Inner Loop Header: Depth=1
	global_load_b32 v7, v0, s[2:3] scale_offset
	s_ashr_i32 s5, s4, 31
	v_max_num_f32_e64 v1, s0, s0
	s_lshl_b64 s[12:13], s[4:5], 3
	s_delay_alu instid0(SALU_CYCLE_1) | instskip(SKIP_1) | instid1(VALU_DEP_1)
	s_add_nc_u64 s[12:13], s[10:11], s[12:13]
	s_load_b64 s[12:13], s[12:13], 0x0
	v_readfirstlane_b32 s5, v1
	v_add_nc_u32_e32 v0, 0xfffff600, v0
	s_wait_kmcnt 0x0
	v_max_num_f32_e64 v1, s12, s12
	s_delay_alu instid0(VALU_DEP_1) | instskip(SKIP_1) | instid1(SALU_CYCLE_3)
	v_readfirstlane_b32 s6, v1
	s_max_num_f32 s5, s5, s6
	s_sub_f32 s0, s0, s5
	s_sub_f32 s6, s12, s5
	s_delay_alu instid0(SALU_CYCLE_2) | instskip(NEXT) | instid1(SALU_CYCLE_2)
	s_mul_f32 s12, s0, 0x3fb8aa3b
	s_mul_f32 s14, s6, 0x3fb8aa3b
	s_delay_alu instid0(SALU_CYCLE_2)
	s_xor_b32 s15, s12, 0x80000000
	s_rndne_f32 s16, s12
	s_fmamk_f32 s15, s0, 0x3fb8aa3b, s15
	s_cmp_nlt_f32 s0, 0xc2ce8ed0
	s_rndne_f32 s17, s14
	s_sub_f32 s12, s12, s16
	s_fmamk_f32 s15, s0, 0x32a5705f, s15
	s_cselect_b32 vcc_lo, -1, 0
	s_cmp_ngt_f32 s0, 0x42b17218
	s_delay_alu instid0(SALU_CYCLE_1) | instskip(SKIP_2) | instid1(SALU_CYCLE_1)
	s_add_f32 s12, s12, s15
	s_cvt_i32_f32 s15, s16
	s_sub_f32 s16, s14, s17
	v_s_exp_f32 s12, s12
	v_nop
	s_delay_alu instid0(TRANS32_DEP_1) | instskip(SKIP_1) | instid1(VALU_DEP_1)
	v_ldexp_f32 v1, s12, s15
	s_cvt_i32_f32 s12, s17
	v_cndmask_b32_e32 v1, 0, v1, vcc_lo
	s_cselect_b32 vcc_lo, -1, 0
	s_cmp_ge_f32 s0, 0xc1a00000
	s_delay_alu instid0(VALU_DEP_1)
	v_cndmask_b32_e32 v1, 0x7f800000, v1, vcc_lo
	s_cselect_b32 vcc_lo, -1, 0
	s_xor_b32 s0, s14, 0x80000000
	s_cmp_nlt_f32 s6, 0xc2ce8ed0
	s_fmamk_f32 s0, s6, 0x3fb8aa3b, s0
	v_cndmask_b32_e32 v10, 0, v1, vcc_lo
	s_delay_alu instid0(SALU_CYCLE_2) | instskip(NEXT) | instid1(SALU_CYCLE_3)
	s_fmamk_f32 s0, s6, 0x32a5705f, s0
	s_add_f32 s0, s16, s0
	s_delay_alu instid0(SALU_CYCLE_3) | instskip(SKIP_1) | instid1(TRANS32_DEP_1)
	v_s_exp_f32 s0, s0
	v_nop
	v_ldexp_f32 v6, s0, s12
	s_cselect_b32 s0, -1, 0
	s_cmp_ngt_f32 s6, 0x42b17218
	s_delay_alu instid0(VALU_DEP_1) | instskip(SKIP_2) | instid1(VALU_DEP_1)
	v_cndmask_b32_e64 v6, 0, v6, s0
	s_cselect_b32 s0, -1, 0
	s_cmp_ge_f32 s6, 0xc1a00000
	v_cndmask_b32_e64 v8, 0x7f800000, v6, s0
	s_cselect_b32 s0, -1, 0
	v_mov_b32_e32 v6, s13
	s_add_co_i32 s1, s1, -1
	s_sub_co_i32 s4, s4, 32
	v_cndmask_b32_e64 v8, 0, v8, s0
	s_cmp_le_i32 s1, s7
	s_mov_b32 s0, s5
	s_wait_loadcnt 0x0
	s_delay_alu instid0(VALU_DEP_1) | instskip(NEXT) | instid1(VALU_DEP_1)
	v_pk_mul_f32 v[6:7], v[6:7], v[8:9] op_sel_hi:[1,0]
	v_pk_fma_f32 v[2:3], v[2:3], v[10:11], v[6:7] op_sel_hi:[1,0,1]
	s_cbranch_scc0 .LBB11_3
	s_branch .LBB11_5
.LBB11_4:
	s_wait_kmcnt 0x0
	v_mov_b32_e32 v2, s14
.LBB11_5:
	v_lshl_add_u64 v[0:1], v[4:5], 2, s[8:9]
	s_wait_loadcnt 0x0
	s_delay_alu instid0(VALU_DEP_2) | instskip(NEXT) | instid1(VALU_DEP_1)
	v_div_scale_f32 v4, null, v2, v2, v3
	v_rcp_f32_e32 v5, v4
	v_nop
	s_delay_alu instid0(TRANS32_DEP_1) | instskip(NEXT) | instid1(VALU_DEP_1)
	v_fma_f32 v6, -v4, v5, 1.0
	v_fmac_f32_e32 v5, v6, v5
	v_div_scale_f32 v6, vcc_lo, v3, v2, v3
	s_delay_alu instid0(VALU_DEP_1) | instskip(NEXT) | instid1(VALU_DEP_1)
	v_mul_f32_e32 v7, v6, v5
	v_fma_f32 v8, -v4, v7, v6
	s_delay_alu instid0(VALU_DEP_1) | instskip(NEXT) | instid1(VALU_DEP_1)
	v_fmac_f32_e32 v7, v8, v5
	v_fma_f32 v4, -v4, v7, v6
	s_delay_alu instid0(VALU_DEP_1) | instskip(NEXT) | instid1(VALU_DEP_1)
	v_div_fmas_f32 v4, v4, v5, v7
	v_div_fixup_f32 v2, v4, v2, v3
	global_store_b32 v[0:1], v2, off
.LBB11_6:
	s_endpgm
	.section	.rodata,"a",@progbits
	.p2align	6, 0x0
	.amdhsa_kernel _ZL33flash_attn_stream_k_fixup_uniformILi80ELi32ELi1EEvPfPK15HIP_vector_typeIfLj2EEiiiiiiS1_IjLj3EES5_S5_
		.amdhsa_group_segment_fixed_size 0
		.amdhsa_private_segment_fixed_size 0
		.amdhsa_kernarg_size 76
		.amdhsa_user_sgpr_count 2
		.amdhsa_user_sgpr_dispatch_ptr 0
		.amdhsa_user_sgpr_queue_ptr 0
		.amdhsa_user_sgpr_kernarg_segment_ptr 1
		.amdhsa_user_sgpr_dispatch_id 0
		.amdhsa_user_sgpr_kernarg_preload_length 0
		.amdhsa_user_sgpr_kernarg_preload_offset 0
		.amdhsa_user_sgpr_private_segment_size 0
		.amdhsa_wavefront_size32 1
		.amdhsa_uses_dynamic_stack 0
		.amdhsa_enable_private_segment 0
		.amdhsa_system_sgpr_workgroup_id_x 1
		.amdhsa_system_sgpr_workgroup_id_y 1
		.amdhsa_system_sgpr_workgroup_id_z 1
		.amdhsa_system_sgpr_workgroup_info 0
		.amdhsa_system_vgpr_workitem_id 0
		.amdhsa_next_free_vgpr 12
		.amdhsa_next_free_sgpr 21
		.amdhsa_named_barrier_count 0
		.amdhsa_reserve_vcc 1
		.amdhsa_float_round_mode_32 0
		.amdhsa_float_round_mode_16_64 0
		.amdhsa_float_denorm_mode_32 3
		.amdhsa_float_denorm_mode_16_64 3
		.amdhsa_fp16_overflow 0
		.amdhsa_memory_ordered 1
		.amdhsa_forward_progress 1
		.amdhsa_inst_pref_size 9
		.amdhsa_round_robin_scheduling 0
		.amdhsa_exception_fp_ieee_invalid_op 0
		.amdhsa_exception_fp_denorm_src 0
		.amdhsa_exception_fp_ieee_div_zero 0
		.amdhsa_exception_fp_ieee_overflow 0
		.amdhsa_exception_fp_ieee_underflow 0
		.amdhsa_exception_fp_ieee_inexact 0
		.amdhsa_exception_int_div_zero 0
	.end_amdhsa_kernel
	.section	.text._ZL33flash_attn_stream_k_fixup_uniformILi80ELi32ELi1EEvPfPK15HIP_vector_typeIfLj2EEiiiiiiS1_IjLj3EES5_S5_,"axG",@progbits,_ZL33flash_attn_stream_k_fixup_uniformILi80ELi32ELi1EEvPfPK15HIP_vector_typeIfLj2EEiiiiiiS1_IjLj3EES5_S5_,comdat
.Lfunc_end11:
	.size	_ZL33flash_attn_stream_k_fixup_uniformILi80ELi32ELi1EEvPfPK15HIP_vector_typeIfLj2EEiiiiiiS1_IjLj3EES5_S5_, .Lfunc_end11-_ZL33flash_attn_stream_k_fixup_uniformILi80ELi32ELi1EEvPfPK15HIP_vector_typeIfLj2EEiiiiiiS1_IjLj3EES5_S5_
                                        ; -- End function
	.set _ZL33flash_attn_stream_k_fixup_uniformILi80ELi32ELi1EEvPfPK15HIP_vector_typeIfLj2EEiiiiiiS1_IjLj3EES5_S5_.num_vgpr, 12
	.set _ZL33flash_attn_stream_k_fixup_uniformILi80ELi32ELi1EEvPfPK15HIP_vector_typeIfLj2EEiiiiiiS1_IjLj3EES5_S5_.num_agpr, 0
	.set _ZL33flash_attn_stream_k_fixup_uniformILi80ELi32ELi1EEvPfPK15HIP_vector_typeIfLj2EEiiiiiiS1_IjLj3EES5_S5_.numbered_sgpr, 21
	.set _ZL33flash_attn_stream_k_fixup_uniformILi80ELi32ELi1EEvPfPK15HIP_vector_typeIfLj2EEiiiiiiS1_IjLj3EES5_S5_.num_named_barrier, 0
	.set _ZL33flash_attn_stream_k_fixup_uniformILi80ELi32ELi1EEvPfPK15HIP_vector_typeIfLj2EEiiiiiiS1_IjLj3EES5_S5_.private_seg_size, 0
	.set _ZL33flash_attn_stream_k_fixup_uniformILi80ELi32ELi1EEvPfPK15HIP_vector_typeIfLj2EEiiiiiiS1_IjLj3EES5_S5_.uses_vcc, 1
	.set _ZL33flash_attn_stream_k_fixup_uniformILi80ELi32ELi1EEvPfPK15HIP_vector_typeIfLj2EEiiiiiiS1_IjLj3EES5_S5_.uses_flat_scratch, 0
	.set _ZL33flash_attn_stream_k_fixup_uniformILi80ELi32ELi1EEvPfPK15HIP_vector_typeIfLj2EEiiiiiiS1_IjLj3EES5_S5_.has_dyn_sized_stack, 0
	.set _ZL33flash_attn_stream_k_fixup_uniformILi80ELi32ELi1EEvPfPK15HIP_vector_typeIfLj2EEiiiiiiS1_IjLj3EES5_S5_.has_recursion, 0
	.set _ZL33flash_attn_stream_k_fixup_uniformILi80ELi32ELi1EEvPfPK15HIP_vector_typeIfLj2EEiiiiiiS1_IjLj3EES5_S5_.has_indirect_call, 0
	.section	.AMDGPU.csdata,"",@progbits
; Kernel info:
; codeLenInByte = 1072
; TotalNumSgprs: 23
; NumVgprs: 12
; ScratchSize: 0
; MemoryBound: 0
; FloatMode: 240
; IeeeMode: 1
; LDSByteSize: 0 bytes/workgroup (compile time only)
; SGPRBlocks: 0
; VGPRBlocks: 0
; NumSGPRsForWavesPerEU: 23
; NumVGPRsForWavesPerEU: 12
; NamedBarCnt: 0
; Occupancy: 16
; WaveLimiterHint : 0
; COMPUTE_PGM_RSRC2:SCRATCH_EN: 0
; COMPUTE_PGM_RSRC2:USER_SGPR: 2
; COMPUTE_PGM_RSRC2:TRAP_HANDLER: 0
; COMPUTE_PGM_RSRC2:TGID_X_EN: 1
; COMPUTE_PGM_RSRC2:TGID_Y_EN: 1
; COMPUTE_PGM_RSRC2:TGID_Z_EN: 1
; COMPUTE_PGM_RSRC2:TIDIG_COMP_CNT: 0
	.section	.text._ZL33flash_attn_stream_k_fixup_generalILi80ELi32ELi1EEvPfPK15HIP_vector_typeIfLj2EEiiiiS1_IjLj3EES5_S5_S5_,"axG",@progbits,_ZL33flash_attn_stream_k_fixup_generalILi80ELi32ELi1EEvPfPK15HIP_vector_typeIfLj2EEiiiiS1_IjLj3EES5_S5_S5_,comdat
	.globl	_ZL33flash_attn_stream_k_fixup_generalILi80ELi32ELi1EEvPfPK15HIP_vector_typeIfLj2EEiiiiS1_IjLj3EES5_S5_S5_ ; -- Begin function _ZL33flash_attn_stream_k_fixup_generalILi80ELi32ELi1EEvPfPK15HIP_vector_typeIfLj2EEiiiiS1_IjLj3EES5_S5_S5_
	.p2align	8
	.type	_ZL33flash_attn_stream_k_fixup_generalILi80ELi32ELi1EEvPfPK15HIP_vector_typeIfLj2EEiiiiS1_IjLj3EES5_S5_S5_,@function
_ZL33flash_attn_stream_k_fixup_generalILi80ELi32ELi1EEvPfPK15HIP_vector_typeIfLj2EEiiiiS1_IjLj3EES5_S5_S5_: ; @_ZL33flash_attn_stream_k_fixup_generalILi80ELi32ELi1EEvPfPK15HIP_vector_typeIfLj2EEiiiiS1_IjLj3EES5_S5_S5_
; %bb.0:
	s_clause 0x1
	s_load_b128 s[4:7], s[0:1], 0x10
	s_load_b32 s16, s[0:1], 0x50
	s_bfe_u32 s2, ttmp6, 0x4000c
	s_and_b32 s3, ttmp6, 15
	s_add_co_i32 s2, s2, 1
	s_getreg_b32 s15, hwreg(HW_REG_IB_STS2, 6, 4)
	s_mul_i32 s2, ttmp9, s2
	s_mov_b32 s17, 0
	s_add_co_i32 s3, s3, s2
	s_cmp_eq_u32 s15, 0
	s_cselect_b32 s2, ttmp9, s3
	s_delay_alu instid0(SALU_CYCLE_1) | instskip(SKIP_3) | instid1(SALU_CYCLE_1)
	s_ashr_i32 s3, s2, 31
	s_wait_kmcnt 0x0
	s_ashr_i32 s19, s7, 31
	s_mov_b32 s18, s7
	s_mul_u64 s[8:9], s[18:19], s[2:3]
	s_delay_alu instid0(SALU_CYCLE_1) | instskip(NEXT) | instid1(SALU_CYCLE_1)
	s_and_b64 s[10:11], s[8:9], 0xffffffff00000000
	s_cmp_lg_u64 s[10:11], 0
	s_cbranch_scc0 .LBB12_21
; %bb.1:
	s_add_nc_u64 s[10:11], s[16:17], 0
	s_mov_b32 s23, s17
	s_xor_b64 s[10:11], s[10:11], 0
	s_mov_b32 s27, s17
	s_cvt_f32_u32 s3, s10
	s_cvt_f32_u32 s7, s11
	s_sub_nc_u64 s[20:21], 0, s[10:11]
	s_delay_alu instid0(SALU_CYCLE_2) | instskip(NEXT) | instid1(SALU_CYCLE_3)
	s_fmamk_f32 s3, s7, 0x4f800000, s3
	v_s_rcp_f32 s3, s3
	s_delay_alu instid0(TRANS32_DEP_1) | instskip(NEXT) | instid1(SALU_CYCLE_3)
	s_mul_f32 s3, s3, 0x5f7ffffc
	s_mul_f32 s7, s3, 0x2f800000
	s_delay_alu instid0(SALU_CYCLE_3) | instskip(NEXT) | instid1(SALU_CYCLE_3)
	s_trunc_f32 s7, s7
	s_fmamk_f32 s3, s7, 0xcf800000, s3
	s_cvt_u32_f32 s13, s7
	s_delay_alu instid0(SALU_CYCLE_2) | instskip(NEXT) | instid1(SALU_CYCLE_3)
	s_cvt_u32_f32 s12, s3
	s_mul_u64 s[24:25], s[20:21], s[12:13]
	s_delay_alu instid0(SALU_CYCLE_1)
	s_mul_hi_u32 s29, s12, s25
	s_mul_i32 s28, s12, s25
	s_mul_hi_u32 s22, s12, s24
	s_mul_i32 s7, s13, s24
	s_add_nc_u64 s[22:23], s[22:23], s[28:29]
	s_mul_hi_u32 s3, s13, s24
	s_mul_hi_u32 s14, s13, s25
	s_add_co_u32 s7, s22, s7
	s_add_co_ci_u32 s26, s23, s3
	s_mul_i32 s24, s13, s25
	s_add_co_ci_u32 s25, s14, 0
	s_delay_alu instid0(SALU_CYCLE_1) | instskip(SKIP_3) | instid1(SALU_CYCLE_1)
	s_add_nc_u64 s[22:23], s[26:27], s[24:25]
	s_mov_b32 s25, s17
	s_add_co_u32 s12, s12, s22
	s_cselect_b32 s3, -1, 0
	s_cmp_lg_u32 s3, 0
	s_add_co_ci_u32 s13, s13, s23
	s_mov_b32 s23, s17
	s_mul_u64 s[20:21], s[20:21], s[12:13]
	s_delay_alu instid0(SALU_CYCLE_1)
	s_mul_hi_u32 s27, s12, s21
	s_mul_i32 s26, s12, s21
	s_mul_hi_u32 s22, s12, s20
	s_mul_i32 s7, s13, s20
	s_add_nc_u64 s[22:23], s[22:23], s[26:27]
	s_mul_hi_u32 s3, s13, s20
	s_mul_hi_u32 s14, s13, s21
	s_add_co_u32 s7, s22, s7
	s_add_co_ci_u32 s24, s23, s3
	s_mul_i32 s20, s13, s21
	s_add_co_ci_u32 s21, s14, 0
	s_mov_b32 s23, s17
	s_add_nc_u64 s[20:21], s[24:25], s[20:21]
	s_delay_alu instid0(SALU_CYCLE_1) | instskip(SKIP_1) | instid1(SALU_CYCLE_1)
	s_add_co_u32 s3, s12, s20
	s_cselect_b32 s7, -1, 0
	s_cmp_lg_u32 s7, 0
	s_add_co_ci_u32 s7, s13, s21
	s_ashr_i32 s12, s9, 31
	s_delay_alu instid0(SALU_CYCLE_1) | instskip(NEXT) | instid1(SALU_CYCLE_1)
	s_mov_b32 s13, s12
	s_add_nc_u64 s[20:21], s[8:9], s[12:13]
	s_delay_alu instid0(SALU_CYCLE_1) | instskip(NEXT) | instid1(SALU_CYCLE_1)
	s_xor_b64 s[20:21], s[20:21], s[12:13]
	s_mul_hi_u32 s27, s20, s7
	s_mul_i32 s26, s20, s7
	s_mul_hi_u32 s22, s20, s3
	s_mul_hi_u32 s14, s21, s3
	s_mul_i32 s3, s21, s3
	s_add_nc_u64 s[22:23], s[22:23], s[26:27]
	s_mul_hi_u32 s9, s21, s7
	s_add_co_u32 s3, s22, s3
	s_add_co_ci_u32 s24, s23, s14
	s_mul_i32 s26, s21, s7
	s_add_co_ci_u32 s27, s9, 0
	s_delay_alu instid0(SALU_CYCLE_1) | instskip(NEXT) | instid1(SALU_CYCLE_1)
	s_add_nc_u64 s[22:23], s[24:25], s[26:27]
	s_and_b64 s[24:25], s[22:23], 0xffffffff00000000
	s_delay_alu instid0(SALU_CYCLE_1) | instskip(NEXT) | instid1(SALU_CYCLE_1)
	s_or_b32 s24, s24, s22
	s_mul_u64 s[22:23], s[10:11], s[24:25]
	s_add_nc_u64 s[26:27], s[24:25], 1
	s_sub_co_u32 s3, s20, s22
	s_cselect_b32 s7, -1, 0
	s_sub_co_i32 s9, s21, s23
	s_cmp_lg_u32 s7, 0
	s_add_nc_u64 s[28:29], s[24:25], 2
	s_sub_co_ci_u32 s9, s9, s11
	s_sub_co_u32 s14, s3, s10
	s_cselect_b32 s20, -1, 0
	s_delay_alu instid0(SALU_CYCLE_1) | instskip(SKIP_1) | instid1(SALU_CYCLE_1)
	s_cmp_lg_u32 s20, 0
	s_sub_co_ci_u32 s9, s9, 0
	s_cmp_ge_u32 s9, s11
	s_cselect_b32 s20, -1, 0
	s_cmp_ge_u32 s14, s10
	s_cselect_b32 s14, -1, 0
	s_cmp_eq_u32 s9, s11
	s_cselect_b32 s9, s14, s20
	s_delay_alu instid0(SALU_CYCLE_1) | instskip(SKIP_4) | instid1(SALU_CYCLE_1)
	s_cmp_lg_u32 s9, 0
	s_cselect_b32 s9, s28, s26
	s_cselect_b32 s14, s29, s27
	s_cmp_lg_u32 s7, 0
	s_sub_co_ci_u32 s7, s21, s23
	s_cmp_ge_u32 s7, s11
	s_cselect_b32 s20, -1, 0
	s_cmp_ge_u32 s3, s10
	s_cselect_b32 s3, -1, 0
	s_cmp_eq_u32 s7, s11
	s_cselect_b32 s3, s3, s20
	s_delay_alu instid0(SALU_CYCLE_1) | instskip(SKIP_4) | instid1(SALU_CYCLE_1)
	s_cmp_lg_u32 s3, 0
	s_mov_b32 s3, s17
	s_cselect_b32 s11, s14, s25
	s_cselect_b32 s10, s9, s24
	s_xor_b64 s[12:13], s[12:13], 0
	s_xor_b64 s[10:11], s[10:11], s[12:13]
	s_delay_alu instid0(SALU_CYCLE_1)
	s_sub_nc_u64 s[20:21], s[10:11], s[12:13]
	s_and_not1_b32 vcc_lo, exec_lo, s3
	s_cbranch_vccnz .LBB12_3
.LBB12_2:
	v_cvt_f32_u32_e32 v1, s16
	s_sub_co_i32 s7, 0, s16
	s_mov_b32 s21, 0
	s_delay_alu instid0(VALU_DEP_1) | instskip(SKIP_1) | instid1(TRANS32_DEP_1)
	v_rcp_iflag_f32_e32 v1, v1
	v_nop
	v_mul_f32_e32 v1, 0x4f7ffffe, v1
	s_delay_alu instid0(VALU_DEP_1) | instskip(NEXT) | instid1(VALU_DEP_1)
	v_cvt_u32_f32_e32 v1, v1
	v_readfirstlane_b32 s3, v1
	s_mul_i32 s7, s7, s3
	s_delay_alu instid0(SALU_CYCLE_1) | instskip(NEXT) | instid1(SALU_CYCLE_1)
	s_mul_hi_u32 s7, s3, s7
	s_add_co_i32 s3, s3, s7
	s_delay_alu instid0(SALU_CYCLE_1) | instskip(NEXT) | instid1(SALU_CYCLE_1)
	s_mul_hi_u32 s3, s8, s3
	s_mul_i32 s7, s3, s16
	s_delay_alu instid0(SALU_CYCLE_1)
	s_sub_co_i32 s7, s8, s7
	s_add_co_i32 s8, s3, 1
	s_sub_co_i32 s9, s7, s16
	s_cmp_ge_u32 s7, s16
	s_cselect_b32 s3, s8, s3
	s_cselect_b32 s7, s9, s7
	s_add_co_i32 s8, s3, 1
	s_cmp_ge_u32 s7, s16
	s_cselect_b32 s20, s8, s3
.LBB12_3:
	s_add_co_i32 s8, s2, 1
	s_delay_alu instid0(SALU_CYCLE_1) | instskip(NEXT) | instid1(SALU_CYCLE_1)
	s_ashr_i32 s9, s8, 31
	s_mul_u64 s[8:9], s[18:19], s[8:9]
	s_delay_alu instid0(SALU_CYCLE_1) | instskip(NEXT) | instid1(SALU_CYCLE_1)
	s_and_b64 s[10:11], s[8:9], 0xffffffff00000000
	s_cmp_lg_u64 s[10:11], 0
	s_cbranch_scc0 .LBB12_22
; %bb.4:
	s_add_nc_u64 s[10:11], s[16:17], 0
	s_delay_alu instid0(SALU_CYCLE_1) | instskip(SKIP_4) | instid1(SALU_CYCLE_2)
	s_xor_b64 s[12:13], s[10:11], 0
	s_mov_b32 s11, 0
	s_cvt_f32_u32 s3, s12
	s_cvt_f32_u32 s7, s13
	s_sub_nc_u64 s[24:25], 0, s[12:13]
	s_fmamk_f32 s3, s7, 0x4f800000, s3
	s_delay_alu instid0(SALU_CYCLE_3) | instskip(NEXT) | instid1(TRANS32_DEP_1)
	v_s_rcp_f32 s3, s3
	s_mul_f32 s3, s3, 0x5f7ffffc
	s_delay_alu instid0(SALU_CYCLE_3) | instskip(NEXT) | instid1(SALU_CYCLE_3)
	s_mul_f32 s7, s3, 0x2f800000
	s_trunc_f32 s7, s7
	s_delay_alu instid0(SALU_CYCLE_3) | instskip(SKIP_1) | instid1(SALU_CYCLE_2)
	s_fmamk_f32 s3, s7, 0xcf800000, s3
	s_cvt_u32_f32 s23, s7
	s_cvt_u32_f32 s22, s3
	s_delay_alu instid0(SALU_CYCLE_3) | instskip(NEXT) | instid1(SALU_CYCLE_1)
	s_mul_u64 s[26:27], s[24:25], s[22:23]
	s_mul_hi_u32 s29, s22, s27
	s_mul_i32 s28, s22, s27
	s_mul_hi_u32 s10, s22, s26
	s_mul_i32 s7, s23, s26
	s_add_nc_u64 s[28:29], s[10:11], s[28:29]
	s_mul_hi_u32 s3, s23, s26
	s_mul_hi_u32 s14, s23, s27
	s_add_co_u32 s7, s28, s7
	s_add_co_ci_u32 s10, s29, s3
	s_mul_i32 s26, s23, s27
	s_add_co_ci_u32 s27, s14, 0
	s_delay_alu instid0(SALU_CYCLE_1) | instskip(NEXT) | instid1(SALU_CYCLE_1)
	s_add_nc_u64 s[26:27], s[10:11], s[26:27]
	s_add_co_u32 s22, s22, s26
	s_cselect_b32 s3, -1, 0
	s_delay_alu instid0(SALU_CYCLE_1) | instskip(SKIP_1) | instid1(SALU_CYCLE_1)
	s_cmp_lg_u32 s3, 0
	s_add_co_ci_u32 s23, s23, s27
	s_mul_u64 s[24:25], s[24:25], s[22:23]
	s_delay_alu instid0(SALU_CYCLE_1)
	s_mul_hi_u32 s27, s22, s25
	s_mul_i32 s26, s22, s25
	s_mul_hi_u32 s10, s22, s24
	s_mul_i32 s7, s23, s24
	s_add_nc_u64 s[26:27], s[10:11], s[26:27]
	s_mul_hi_u32 s3, s23, s24
	s_mul_hi_u32 s14, s23, s25
	s_add_co_u32 s7, s26, s7
	s_add_co_ci_u32 s10, s27, s3
	s_mul_i32 s24, s23, s25
	s_add_co_ci_u32 s25, s14, 0
	s_delay_alu instid0(SALU_CYCLE_1) | instskip(NEXT) | instid1(SALU_CYCLE_1)
	s_add_nc_u64 s[24:25], s[10:11], s[24:25]
	s_add_co_u32 s3, s22, s24
	s_cselect_b32 s7, -1, 0
	s_delay_alu instid0(SALU_CYCLE_1) | instskip(SKIP_2) | instid1(SALU_CYCLE_1)
	s_cmp_lg_u32 s7, 0
	s_add_co_ci_u32 s7, s23, s25
	s_ashr_i32 s22, s9, 31
	s_mov_b32 s23, s22
	s_delay_alu instid0(SALU_CYCLE_1) | instskip(NEXT) | instid1(SALU_CYCLE_1)
	s_add_nc_u64 s[24:25], s[8:9], s[22:23]
	s_xor_b64 s[24:25], s[24:25], s[22:23]
	s_delay_alu instid0(SALU_CYCLE_1)
	s_mul_hi_u32 s27, s24, s7
	s_mul_i32 s26, s24, s7
	s_mul_hi_u32 s10, s24, s3
	s_mul_hi_u32 s14, s25, s3
	s_mul_i32 s3, s25, s3
	s_add_nc_u64 s[26:27], s[10:11], s[26:27]
	s_mul_hi_u32 s9, s25, s7
	s_add_co_u32 s3, s26, s3
	s_add_co_ci_u32 s10, s27, s14
	s_mul_i32 s28, s25, s7
	s_add_co_ci_u32 s29, s9, 0
	s_delay_alu instid0(SALU_CYCLE_1) | instskip(NEXT) | instid1(SALU_CYCLE_1)
	s_add_nc_u64 s[26:27], s[10:11], s[28:29]
	s_and_b64 s[28:29], s[26:27], 0xffffffff00000000
	s_delay_alu instid0(SALU_CYCLE_1) | instskip(NEXT) | instid1(SALU_CYCLE_1)
	s_or_b32 s28, s28, s26
	s_mul_u64 s[26:27], s[12:13], s[28:29]
	s_add_nc_u64 s[30:31], s[28:29], 1
	s_sub_co_u32 s3, s24, s26
	s_cselect_b32 s7, -1, 0
	s_sub_co_i32 s9, s25, s27
	s_cmp_lg_u32 s7, 0
	s_add_nc_u64 s[34:35], s[28:29], 2
	s_sub_co_ci_u32 s9, s9, s13
	s_sub_co_u32 s10, s3, s12
	s_cselect_b32 s14, -1, 0
	s_delay_alu instid0(SALU_CYCLE_1) | instskip(SKIP_1) | instid1(SALU_CYCLE_1)
	s_cmp_lg_u32 s14, 0
	s_sub_co_ci_u32 s9, s9, 0
	s_cmp_ge_u32 s9, s13
	s_cselect_b32 s14, -1, 0
	s_cmp_ge_u32 s10, s12
	s_cselect_b32 s10, -1, 0
	s_cmp_eq_u32 s9, s13
	s_cselect_b32 s9, s10, s14
	s_delay_alu instid0(SALU_CYCLE_1) | instskip(SKIP_4) | instid1(SALU_CYCLE_1)
	s_cmp_lg_u32 s9, 0
	s_cselect_b32 s9, s34, s30
	s_cselect_b32 s10, s35, s31
	s_cmp_lg_u32 s7, 0
	s_sub_co_ci_u32 s7, s25, s27
	s_cmp_ge_u32 s7, s13
	s_cselect_b32 s14, -1, 0
	s_cmp_ge_u32 s3, s12
	s_cselect_b32 s3, -1, 0
	s_cmp_eq_u32 s7, s13
	s_cselect_b32 s3, s3, s14
	s_delay_alu instid0(SALU_CYCLE_1) | instskip(SKIP_3) | instid1(SALU_CYCLE_1)
	s_cmp_lg_u32 s3, 0
	s_cselect_b32 s13, s10, s29
	s_cselect_b32 s12, s9, s28
	s_xor_b64 s[22:23], s[22:23], 0
	s_xor_b64 s[12:13], s[12:13], s[22:23]
	s_delay_alu instid0(SALU_CYCLE_1)
	s_sub_nc_u64 s[24:25], s[12:13], s[22:23]
	s_load_b96 s[12:14], s[0:1], 0x44
	s_cbranch_execnz .LBB12_6
.LBB12_5:
	v_cvt_f32_u32_e32 v1, s16
	s_sub_co_i32 s7, 0, s16
	s_delay_alu instid0(VALU_DEP_1) | instskip(SKIP_1) | instid1(TRANS32_DEP_1)
	v_rcp_iflag_f32_e32 v1, v1
	v_nop
	v_mul_f32_e32 v1, 0x4f7ffffe, v1
	s_delay_alu instid0(VALU_DEP_1) | instskip(NEXT) | instid1(VALU_DEP_1)
	v_cvt_u32_f32_e32 v1, v1
	v_readfirstlane_b32 s3, v1
	s_mul_i32 s7, s7, s3
	s_delay_alu instid0(SALU_CYCLE_1) | instskip(NEXT) | instid1(SALU_CYCLE_1)
	s_mul_hi_u32 s7, s3, s7
	s_add_co_i32 s3, s3, s7
	s_delay_alu instid0(SALU_CYCLE_1) | instskip(NEXT) | instid1(SALU_CYCLE_1)
	s_mul_hi_u32 s3, s8, s3
	s_mul_i32 s7, s3, s16
	s_delay_alu instid0(SALU_CYCLE_1)
	s_sub_co_i32 s7, s8, s7
	s_add_co_i32 s8, s3, 1
	s_sub_co_i32 s9, s7, s16
	s_cmp_ge_u32 s7, s16
	s_cselect_b32 s3, s8, s3
	s_cselect_b32 s7, s9, s7
	s_add_co_i32 s8, s3, 1
	s_cmp_ge_u32 s7, s16
	s_cselect_b32 s24, s8, s3
.LBB12_6:
	s_delay_alu instid0(SALU_CYCLE_1)
	s_cmp_eq_u32 s20, s24
	s_mov_b64 s[8:9], 0xffffffff
	s_cselect_b32 s3, -1, 0
	s_and_b64 s[8:9], s[20:21], s[8:9]
	s_mov_b32 s23, 0
	s_wait_kmcnt 0x0
	s_mov_b32 s22, s12
	s_mov_b32 s25, s23
	s_mul_u64 s[10:11], s[8:9], s[22:23]
	s_delay_alu instid0(SALU_CYCLE_1) | instskip(SKIP_2) | instid1(SALU_CYCLE_1)
	s_add_co_i32 s7, s11, s20
	s_mul_u64 s[10:11], s[24:25], s[22:23]
	s_lshr_b32 s12, s7, s13
	s_mul_i32 s7, s12, s14
	s_delay_alu instid0(SALU_CYCLE_1) | instskip(SKIP_2) | instid1(SALU_CYCLE_1)
	s_cmp_eq_u32 s7, s20
	s_cselect_b32 s7, -1, 0
	s_add_co_i32 s10, s11, s24
	s_lshr_b32 s10, s10, s13
	s_delay_alu instid0(SALU_CYCLE_1)
	s_cmp_eq_u32 s12, s10
	s_mul_i32 s10, s10, s14
	s_cselect_b32 s11, -1, 0
	s_cmp_lg_u32 s10, s24
	s_cselect_b32 s10, -1, 0
	s_or_b32 s3, s3, s7
	s_and_b32 s10, s11, s10
	s_delay_alu instid0(SALU_CYCLE_1) | instskip(NEXT) | instid1(SALU_CYCLE_1)
	s_or_b32 s3, s3, s10
	s_and_b32 vcc_lo, exec_lo, s3
	s_cbranch_vccnz .LBB12_24
; %bb.7:
	s_load_b256 s[24:31], s[0:1], 0x20
	s_bfe_u32 s7, ttmp6, 0x40014
	s_bfe_u32 s33, ttmp6, 0x40010
	s_lshr_b32 s3, ttmp7, 16
	s_add_co_i32 s7, s7, 1
	s_and_b32 s21, ttmp7, 0xffff
	s_add_co_i32 s33, s33, 1
	s_bfe_u32 s10, ttmp6, 0x40008
	s_mul_i32 s7, s3, s7
	s_bfe_u32 s34, ttmp6, 0x40004
	s_mul_i32 s33, s21, s33
	s_mov_b32 s11, s23
	s_add_co_i32 s7, s10, s7
	s_add_co_i32 s34, s34, s33
	s_cmp_eq_u32 s15, 0
	s_cselect_b32 s15, s21, s34
	s_cselect_b32 s3, s3, s7
	s_wait_kmcnt 0x0
	s_mov_b32 s10, s24
	s_delay_alu instid0(SALU_CYCLE_1) | instskip(SKIP_2) | instid1(SALU_CYCLE_1)
	s_mul_u64 s[8:9], s[8:9], s[10:11]
	s_load_b32 s8, s[0:1], 0x40
	s_add_co_i32 s7, s9, s20
	s_lshr_b32 s7, s7, s25
	s_delay_alu instid0(SALU_CYCLE_1) | instskip(NEXT) | instid1(SALU_CYCLE_1)
	s_mul_i32 s9, s7, s26
	s_sub_co_i32 s9, s20, s9
	s_delay_alu instid0(SALU_CYCLE_1) | instskip(NEXT) | instid1(SALU_CYCLE_1)
	s_mul_hi_u32 s10, s9, s27
	s_add_co_i32 s10, s9, s10
	s_delay_alu instid0(SALU_CYCLE_1) | instskip(NEXT) | instid1(SALU_CYCLE_1)
	s_lshr_b32 s21, s10, s28
	s_mul_i32 s10, s21, s29
	s_delay_alu instid0(SALU_CYCLE_1) | instskip(NEXT) | instid1(SALU_CYCLE_1)
	s_sub_co_i32 s10, s9, s10
	s_mul_hi_u32 s9, s10, s30
	s_delay_alu instid0(SALU_CYCLE_1) | instskip(NEXT) | instid1(SALU_CYCLE_1)
	s_add_co_i32 s9, s10, s9
	s_lshr_b32 s25, s9, s31
	s_mov_b32 s9, s23
	s_wait_kmcnt 0x0
	s_mul_i32 s8, s25, s8
	s_delay_alu instid0(SALU_CYCLE_1) | instskip(NEXT) | instid1(SALU_CYCLE_1)
	s_sub_co_i32 s8, s10, s8
	s_mul_u64 s[10:11], s[8:9], s[22:23]
	s_delay_alu instid0(SALU_CYCLE_1) | instskip(NEXT) | instid1(SALU_CYCLE_1)
	s_add_co_i32 s8, s8, s11
	s_lshr_b32 s24, s8, s13
	s_delay_alu instid0(SALU_CYCLE_1) | instskip(NEXT) | instid1(SALU_CYCLE_1)
	s_lshl_b32 s8, s24, 5
	s_add_co_i32 s8, s8, s15
	s_delay_alu instid0(SALU_CYCLE_1) | instskip(SKIP_2) | instid1(SALU_CYCLE_1)
	s_cmp_lt_i32 s8, s4
	s_cselect_b32 s8, -1, 0
	s_add_co_i32 s25, s25, s3
	s_cmp_lt_i32 s25, s6
	s_cselect_b32 s9, -1, 0
	s_delay_alu instid0(SALU_CYCLE_1) | instskip(NEXT) | instid1(SALU_CYCLE_1)
	s_and_b32 s8, s8, s9
	s_and_not1_b32 vcc_lo, exec_lo, s8
	s_cbranch_vccnz .LBB12_24
; %bb.8:
	s_load_b128 s[8:11], s[0:1], 0x0
	s_wait_xcnt 0x0
	s_mul_i32 s0, s7, s4
	s_mul_i32 s21, s21, s6
	s_add_co_i32 s0, s0, s15
	s_add_co_i32 s1, s25, s21
	s_mul_i32 s0, s0, s5
	s_mul_i32 s4, s5, s24
	s_add_co_i32 s0, s1, s0
	s_mulk_i32 s4, 0xa00
	s_mulk_i32 s0, 0x50
	s_add_co_i32 s15, s15, s3
	v_add3_u32 v2, s4, s0, v0
	s_add_nc_u64 s[0:1], s[16:17], 0
	v_cvt_f32_u32_e32 v4, s16
	s_xor_b64 s[6:7], s[0:1], 0
	s_lshl_b32 s0, s2, 5
	s_cvt_f32_u32 s3, s6
	s_cvt_f32_u32 s4, s7
	s_add_co_i32 s0, s0, s15
	v_rcp_iflag_f32_e32 v4, v4
	s_wait_kmcnt 0x0
	global_load_b32 v1, v2, s[8:9] scale_offset
	s_fmamk_f32 s3, s4, 0x4f800000, s3
	s_ashr_i32 s1, s0, 31
	s_lshl_b32 s24, s16, 7
	s_lshl_b64 s[0:1], s[0:1], 3
	v_s_rcp_f32 s3, s3
	s_add_nc_u64 s[0:1], s[10:11], s[0:1]
	s_mov_b32 s25, 0
	s_load_b64 s[28:29], s[0:1], 0x0
	v_mad_u32 v6, 0x50, s15, v0
	v_dual_mul_f32 v4, 0x4f7ffffe, v4 :: v_dual_ashrrev_i32 v3, 31, v2
	s_wait_xcnt 0x0
	s_lshl_b64 s[0:1], s[24:25], 2
	s_mul_f32 s3, s3, 0x5f7ffffc
	s_add_nc_u64 s[26:27], s[10:11], s[0:1]
	v_lshl_add_u64 v[2:3], v[2:3], 2, s[8:9]
	v_cvt_u32_f32_e32 v7, v4
	s_mul_f32 s4, s3, 0x2f800000
	s_mov_b64 s[8:9], 0xffffffff
	s_add_co_i32 s36, s2, -1
	s_sub_nc_u64 s[34:35], 0, s[6:7]
	s_trunc_f32 s4, s4
	s_delay_alu instid0(SALU_CYCLE_3)
	s_fmamk_f32 s0, s4, 0xcf800000, s3
	s_cvt_u32_f32 s31, s4
	s_wait_kmcnt 0x0
	v_mov_b32_e32 v0, s29
	s_cvt_u32_f32 s30, s0
.LBB12_9:                               ; =>This Inner Loop Header: Depth=1
	s_ashr_i32 s37, s36, 31
                                        ; implicit-def: $sgpr40_sgpr41
	s_delay_alu instid0(SALU_CYCLE_1) | instskip(NEXT) | instid1(SALU_CYCLE_1)
	s_mul_u64 s[0:1], s[36:37], s[18:19]
	s_and_b64 s[2:3], s[0:1], 0xffffffff00000000
	s_delay_alu instid0(SALU_CYCLE_1)
	s_cmp_lg_u64 s[2:3], 0
	s_mov_b32 s2, -1
	s_cbranch_scc0 .LBB12_11
; %bb.10:                               ;   in Loop: Header=BB12_9 Depth=1
	s_mul_u64 s[2:3], s[34:35], s[30:31]
	s_delay_alu instid0(SALU_CYCLE_1)
	s_mul_hi_u32 s5, s30, s3
	s_mul_i32 s4, s30, s3
	s_mul_hi_u32 s24, s30, s2
	s_mul_hi_u32 s17, s31, s2
	s_add_nc_u64 s[4:5], s[24:25], s[4:5]
	s_mul_i32 s2, s31, s2
	s_mul_hi_u32 s21, s31, s3
	s_add_co_u32 s2, s4, s2
	s_add_co_ci_u32 s24, s5, s17
	s_add_co_ci_u32 s5, s21, 0
	s_mul_i32 s4, s31, s3
	s_delay_alu instid0(SALU_CYCLE_1) | instskip(NEXT) | instid1(SALU_CYCLE_1)
	s_add_nc_u64 s[2:3], s[24:25], s[4:5]
	s_add_co_u32 s2, s30, s2
	s_cselect_b32 s4, -1, 0
	s_delay_alu instid0(SALU_CYCLE_1) | instskip(SKIP_1) | instid1(SALU_CYCLE_1)
	s_cmp_lg_u32 s4, 0
	s_add_co_ci_u32 s3, s31, s3
	s_mul_u64 s[4:5], s[34:35], s[2:3]
	s_delay_alu instid0(SALU_CYCLE_1)
	s_mul_hi_u32 s39, s2, s5
	s_mul_i32 s38, s2, s5
	s_mul_hi_u32 s24, s2, s4
	s_mul_hi_u32 s17, s3, s4
	s_mul_i32 s4, s3, s4
	s_add_nc_u64 s[38:39], s[24:25], s[38:39]
	s_mul_hi_u32 s21, s3, s5
	s_add_co_u32 s4, s38, s4
	s_add_co_ci_u32 s24, s39, s17
	s_mul_i32 s4, s3, s5
	s_add_co_ci_u32 s5, s21, 0
	s_delay_alu instid0(SALU_CYCLE_1) | instskip(NEXT) | instid1(SALU_CYCLE_1)
	s_add_nc_u64 s[4:5], s[24:25], s[4:5]
	s_add_co_u32 s17, s2, s4
	s_cselect_b32 s2, -1, 0
	s_delay_alu instid0(SALU_CYCLE_1) | instskip(SKIP_2) | instid1(SALU_CYCLE_1)
	s_cmp_lg_u32 s2, 0
	s_add_co_ci_u32 s21, s3, s5
	s_ashr_i32 s2, s1, 31
	s_mov_b32 s3, s2
	s_delay_alu instid0(SALU_CYCLE_1) | instskip(NEXT) | instid1(SALU_CYCLE_1)
	s_add_nc_u64 s[4:5], s[0:1], s[2:3]
	s_xor_b64 s[4:5], s[4:5], s[2:3]
	s_delay_alu instid0(SALU_CYCLE_1)
	s_mul_hi_u32 s39, s4, s21
	s_mul_i32 s38, s4, s21
	s_mul_hi_u32 s24, s4, s17
	s_mul_hi_u32 s29, s5, s17
	s_mul_i32 s17, s5, s17
	s_add_nc_u64 s[38:39], s[24:25], s[38:39]
	s_mul_hi_u32 s1, s5, s21
	s_add_co_u32 s17, s38, s17
	s_add_co_ci_u32 s24, s39, s29
	s_mul_i32 s40, s5, s21
	s_add_co_ci_u32 s41, s1, 0
	s_delay_alu instid0(SALU_CYCLE_1) | instskip(NEXT) | instid1(SALU_CYCLE_1)
	s_add_nc_u64 s[38:39], s[24:25], s[40:41]
	s_and_b64 s[40:41], s[38:39], 0xffffffff00000000
	s_delay_alu instid0(SALU_CYCLE_1) | instskip(NEXT) | instid1(SALU_CYCLE_1)
	s_or_b32 s40, s40, s38
	s_mul_u64 s[38:39], s[6:7], s[40:41]
	s_add_nc_u64 s[42:43], s[40:41], 1
	s_sub_co_u32 s1, s4, s38
	s_cselect_b32 s4, -1, 0
	s_sub_co_i32 s17, s5, s39
	s_cmp_lg_u32 s4, 0
	s_add_nc_u64 s[44:45], s[40:41], 2
	s_sub_co_ci_u32 s17, s17, s7
	s_sub_co_u32 s21, s1, s6
	s_cselect_b32 s24, -1, 0
	s_delay_alu instid0(SALU_CYCLE_1) | instskip(SKIP_1) | instid1(SALU_CYCLE_1)
	s_cmp_lg_u32 s24, 0
	s_sub_co_ci_u32 s17, s17, 0
	s_cmp_ge_u32 s17, s7
	s_cselect_b32 s24, -1, 0
	s_cmp_ge_u32 s21, s6
	s_cselect_b32 s21, -1, 0
	s_cmp_eq_u32 s17, s7
	s_cselect_b32 s17, s21, s24
	s_delay_alu instid0(SALU_CYCLE_1) | instskip(SKIP_4) | instid1(SALU_CYCLE_1)
	s_cmp_lg_u32 s17, 0
	s_cselect_b32 s17, s44, s42
	s_cselect_b32 s21, s45, s43
	s_cmp_lg_u32 s4, 0
	s_sub_co_ci_u32 s4, s5, s39
	s_cmp_ge_u32 s4, s7
	s_cselect_b32 s5, -1, 0
	s_cmp_ge_u32 s1, s6
	s_cselect_b32 s1, -1, 0
	s_cmp_eq_u32 s4, s7
	s_cselect_b32 s1, s1, s5
	s_delay_alu instid0(SALU_CYCLE_1) | instskip(SKIP_3) | instid1(SALU_CYCLE_1)
	s_cmp_lg_u32 s1, 0
	s_cselect_b32 s5, s21, s41
	s_cselect_b32 s4, s17, s40
	s_xor_b64 s[2:3], s[2:3], 0
	s_xor_b64 s[4:5], s[4:5], s[2:3]
	s_delay_alu instid0(SALU_CYCLE_1)
	s_sub_nc_u64 s[40:41], s[4:5], s[2:3]
	s_mov_b32 s2, 0
.LBB12_11:                              ;   in Loop: Header=BB12_9 Depth=1
	s_delay_alu instid0(SALU_CYCLE_1)
	s_and_not1_b32 vcc_lo, exec_lo, s2
	s_cbranch_vccnz .LBB12_13
; %bb.12:                               ;   in Loop: Header=BB12_9 Depth=1
	v_readfirstlane_b32 s1, v7
	s_sub_co_i32 s2, 0, s16
	s_delay_alu instid0(SALU_CYCLE_1) | instskip(NEXT) | instid1(SALU_CYCLE_1)
	s_mul_i32 s2, s2, s1
	s_mul_hi_u32 s2, s1, s2
	s_delay_alu instid0(SALU_CYCLE_1) | instskip(NEXT) | instid1(SALU_CYCLE_1)
	s_add_co_i32 s1, s1, s2
	s_mul_hi_u32 s1, s0, s1
	s_delay_alu instid0(SALU_CYCLE_1) | instskip(NEXT) | instid1(SALU_CYCLE_1)
	s_mul_i32 s2, s1, s16
	s_sub_co_i32 s0, s0, s2
	s_add_co_i32 s2, s1, 1
	s_sub_co_i32 s3, s0, s16
	s_cmp_ge_u32 s0, s16
	s_cselect_b32 s1, s2, s1
	s_cselect_b32 s0, s3, s0
	s_add_co_i32 s2, s1, 1
	s_cmp_ge_u32 s0, s16
	s_cselect_b32 s24, s2, s1
	s_delay_alu instid0(SALU_CYCLE_1)
	s_mov_b64 s[40:41], s[24:25]
.LBB12_13:                              ;   in Loop: Header=BB12_9 Depth=1
	s_delay_alu instid0(SALU_CYCLE_1)
	s_cmp_lg_u32 s20, s40
	s_mov_b32 s0, -1
                                        ; implicit-def: $vgpr4_vgpr5
                                        ; implicit-def: $sgpr24
                                        ; implicit-def: $sgpr17
                                        ; implicit-def: $sgpr21
                                        ; implicit-def: $sgpr29
	s_cbranch_scc0 .LBB12_18
; %bb.14:                               ;   in Loop: Header=BB12_9 Depth=1
	s_add_co_i32 s0, s36, s16
	v_max_num_f32_e64 v4, s28, s28
	s_lshl_b32 s0, s0, 5
	s_mov_b32 s29, s20
	s_add_co_i32 s0, s0, s15
	s_load_b64 s[38:39], s[10:11], s0 offset:0x0 scale_offset
	s_wait_xcnt 0x0
	v_readfirstlane_b32 s0, v4
	s_wait_kmcnt 0x0
	v_max_num_f32_e64 v5, s38, s38
	s_delay_alu instid0(VALU_DEP_1) | instskip(SKIP_1) | instid1(SALU_CYCLE_3)
	v_readfirstlane_b32 s1, v5
	s_max_num_f32 s17, s0, s1
	s_sub_f32 s33, s28, s17
	s_sub_f32 s37, s38, s17
	s_delay_alu instid0(SALU_CYCLE_2)
	s_cmp_nlt_f32 s33, 0xc2ce8ed0
	s_cselect_b32 s1, -1, 0
	s_cmp_ngt_f32 s33, 0x42b17218
	s_cselect_b32 s2, -1, 0
	s_cmp_ge_f32 s33, 0xc1a00000
	s_cselect_b32 s0, -1, 0
	s_cmp_nlt_f32 s37, 0xc2ce8ed0
	s_cselect_b32 s3, -1, 0
	s_cmp_ngt_f32 s37, 0x42b17218
	s_cselect_b32 s4, -1, 0
	s_cmp_ge_f32 s37, 0xc1a00000
	s_cselect_b32 s5, -1, 0
	s_and_b64 s[42:43], s[40:41], s[8:9]
	s_delay_alu instid0(SALU_CYCLE_1) | instskip(NEXT) | instid1(SALU_CYCLE_1)
	s_mul_u64 s[42:43], s[42:43], s[22:23]
	s_add_co_i32 s21, s43, s40
	s_delay_alu instid0(SALU_CYCLE_1) | instskip(NEXT) | instid1(SALU_CYCLE_1)
	s_lshr_b32 s21, s21, s13
	s_mul_i32 s24, s21, s14
	s_delay_alu instid0(SALU_CYCLE_1) | instskip(SKIP_3) | instid1(SALU_CYCLE_1)
	s_cmp_eq_u32 s24, s40
	s_cselect_b32 s24, -1, 0
	s_cmp_lt_u32 s21, s12
	s_cselect_b32 s21, -1, 0
	s_or_b32 s21, s21, s24
	s_mov_b32 s24, -1
	s_and_b32 vcc_lo, exec_lo, s21
	s_mov_b32 s21, s36
	s_cbranch_vccnz .LBB12_16
; %bb.15:                               ;   in Loop: Header=BB12_9 Depth=1
	s_add_co_i32 s21, s36, -1
	s_mov_b32 s24, 0
	s_mov_b32 s29, s40
.LBB12_16:                              ;   in Loop: Header=BB12_9 Depth=1
	v_mad_u32 v4, 0xa00, s36, v6
	s_mul_f32 s40, s33, 0x3fb8aa3b
	s_mul_f32 s38, s37, 0x3fb8aa3b
	s_delay_alu instid0(SALU_CYCLE_2)
	s_xor_b32 s42, s40, 0x80000000
	s_rndne_f32 s44, s40
	s_fmamk_f32 s42, s33, 0x3fb8aa3b, s42
	s_xor_b32 s41, s38, 0x80000000
	s_rndne_f32 s43, s38
	s_sub_f32 s40, s40, s44
	global_load_b32 v5, v4, s[26:27] scale_offset
	s_fmamk_f32 s33, s33, 0x32a5705f, s42
	s_fmamk_f32 s41, s37, 0x3fb8aa3b, s41
	s_sub_f32 s38, s38, s43
	s_delay_alu instid0(SALU_CYCLE_1) | instskip(NEXT) | instid1(SALU_CYCLE_1)
	s_add_f32 s33, s40, s33
	s_fmamk_f32 s37, s37, 0x32a5705f, s41
	s_cvt_i32_f32 s40, s44
	s_delay_alu instid0(SALU_CYCLE_1) | instskip(NEXT) | instid1(SALU_CYCLE_1)
	v_s_exp_f32 s33, s33
	s_add_f32 s37, s38, s37
	s_cvt_i32_f32 s38, s43
	s_delay_alu instid0(SALU_CYCLE_2) | instskip(NEXT) | instid1(TRANS32_DEP_2)
	v_s_exp_f32 s37, s37
	v_ldexp_f32 v8, s33, s40
	s_wait_xcnt 0x0
	s_delay_alu instid0(TRANS32_DEP_1) | instskip(NEXT) | instid1(VALU_DEP_2)
	v_ldexp_f32 v4, s37, s38
	v_cndmask_b32_e64 v8, 0, v8, s1
	s_delay_alu instid0(VALU_DEP_1) | instskip(NEXT) | instid1(VALU_DEP_1)
	v_cndmask_b32_e64 v9, 0x7f800000, v8, s2
	v_dual_cndmask_b32 v4, 0, v4, s3 :: v_dual_cndmask_b32 v10, 0, v9, s0
	s_delay_alu instid0(VALU_DEP_1) | instskip(NEXT) | instid1(VALU_DEP_1)
	v_cndmask_b32_e64 v4, 0x7f800000, v4, s4
	v_dual_cndmask_b32 v8, 0, v4, s5 :: v_dual_mov_b32 v4, s39
	s_wait_loadcnt 0x0
	s_delay_alu instid0(VALU_DEP_1) | instskip(NEXT) | instid1(VALU_DEP_1)
	v_pk_mul_f32 v[4:5], v[4:5], v[8:9] op_sel_hi:[1,0]
	v_pk_fma_f32 v[4:5], v[0:1], v[10:11], v[4:5] op_sel_hi:[1,0,1]
	s_cbranch_execz .LBB12_19
.LBB12_17:                              ;   in Loop: Header=BB12_9 Depth=1
	s_and_not1_b32 vcc_lo, exec_lo, s24
	s_cbranch_vccnz .LBB12_20
	s_branch .LBB12_23
.LBB12_18:                              ;   in Loop: Header=BB12_9 Depth=1
	s_and_not1_b32 vcc_lo, exec_lo, s0
	s_cbranch_vccnz .LBB12_17
.LBB12_19:                              ;   in Loop: Header=BB12_9 Depth=1
	s_wait_loadcnt 0x0
	v_mov_b64_e32 v[4:5], v[0:1]
	s_add_co_i32 s21, s36, -1
	s_mov_b32 s29, s20
	s_mov_b32 s17, s28
	s_cbranch_execz .LBB12_23
.LBB12_20:                              ;   in Loop: Header=BB12_9 Depth=1
	s_wait_loadcnt 0x0
	s_delay_alu instid0(VALU_DEP_1)
	v_mov_b64_e32 v[0:1], v[4:5]
	s_mov_b32 s20, s29
	s_mov_b32 s36, s21
	;; [unrolled: 1-line block ×3, first 2 shown]
	s_branch .LBB12_9
.LBB12_21:
                                        ; implicit-def: $sgpr20_sgpr21
	s_branch .LBB12_2
.LBB12_22:
                                        ; implicit-def: $sgpr24_sgpr25
	s_load_b96 s[12:14], s[0:1], 0x44
	s_branch .LBB12_5
.LBB12_23:
	s_delay_alu instid0(VALU_DEP_1) | instskip(SKIP_1) | instid1(VALU_DEP_1)
	v_div_scale_f32 v0, null, v4, v4, v5
	s_wait_loadcnt 0x0
	v_rcp_f32_e32 v1, v0
	v_nop
	s_delay_alu instid0(TRANS32_DEP_1) | instskip(NEXT) | instid1(VALU_DEP_1)
	v_fma_f32 v6, -v0, v1, 1.0
	v_fmac_f32_e32 v1, v6, v1
	v_div_scale_f32 v6, vcc_lo, v5, v4, v5
	s_delay_alu instid0(VALU_DEP_1) | instskip(NEXT) | instid1(VALU_DEP_1)
	v_mul_f32_e32 v7, v6, v1
	v_fma_f32 v8, -v0, v7, v6
	s_delay_alu instid0(VALU_DEP_1) | instskip(NEXT) | instid1(VALU_DEP_1)
	v_fmac_f32_e32 v7, v8, v1
	v_fma_f32 v0, -v0, v7, v6
	s_delay_alu instid0(VALU_DEP_1) | instskip(NEXT) | instid1(VALU_DEP_1)
	v_div_fmas_f32 v0, v0, v1, v7
	v_div_fixup_f32 v0, v0, v4, v5
	global_store_b32 v[2:3], v0, off
.LBB12_24:
	s_endpgm
	.section	.rodata,"a",@progbits
	.p2align	6, 0x0
	.amdhsa_kernel _ZL33flash_attn_stream_k_fixup_generalILi80ELi32ELi1EEvPfPK15HIP_vector_typeIfLj2EEiiiiS1_IjLj3EES5_S5_S5_
		.amdhsa_group_segment_fixed_size 0
		.amdhsa_private_segment_fixed_size 0
		.amdhsa_kernarg_size 336
		.amdhsa_user_sgpr_count 2
		.amdhsa_user_sgpr_dispatch_ptr 0
		.amdhsa_user_sgpr_queue_ptr 0
		.amdhsa_user_sgpr_kernarg_segment_ptr 1
		.amdhsa_user_sgpr_dispatch_id 0
		.amdhsa_user_sgpr_kernarg_preload_length 0
		.amdhsa_user_sgpr_kernarg_preload_offset 0
		.amdhsa_user_sgpr_private_segment_size 0
		.amdhsa_wavefront_size32 1
		.amdhsa_uses_dynamic_stack 0
		.amdhsa_enable_private_segment 0
		.amdhsa_system_sgpr_workgroup_id_x 1
		.amdhsa_system_sgpr_workgroup_id_y 1
		.amdhsa_system_sgpr_workgroup_id_z 1
		.amdhsa_system_sgpr_workgroup_info 0
		.amdhsa_system_vgpr_workitem_id 0
		.amdhsa_next_free_vgpr 12
		.amdhsa_next_free_sgpr 46
		.amdhsa_named_barrier_count 0
		.amdhsa_reserve_vcc 1
		.amdhsa_float_round_mode_32 0
		.amdhsa_float_round_mode_16_64 0
		.amdhsa_float_denorm_mode_32 3
		.amdhsa_float_denorm_mode_16_64 3
		.amdhsa_fp16_overflow 0
		.amdhsa_memory_ordered 1
		.amdhsa_forward_progress 1
		.amdhsa_inst_pref_size 27
		.amdhsa_round_robin_scheduling 0
		.amdhsa_exception_fp_ieee_invalid_op 0
		.amdhsa_exception_fp_denorm_src 0
		.amdhsa_exception_fp_ieee_div_zero 0
		.amdhsa_exception_fp_ieee_overflow 0
		.amdhsa_exception_fp_ieee_underflow 0
		.amdhsa_exception_fp_ieee_inexact 0
		.amdhsa_exception_int_div_zero 0
	.end_amdhsa_kernel
	.section	.text._ZL33flash_attn_stream_k_fixup_generalILi80ELi32ELi1EEvPfPK15HIP_vector_typeIfLj2EEiiiiS1_IjLj3EES5_S5_S5_,"axG",@progbits,_ZL33flash_attn_stream_k_fixup_generalILi80ELi32ELi1EEvPfPK15HIP_vector_typeIfLj2EEiiiiS1_IjLj3EES5_S5_S5_,comdat
.Lfunc_end12:
	.size	_ZL33flash_attn_stream_k_fixup_generalILi80ELi32ELi1EEvPfPK15HIP_vector_typeIfLj2EEiiiiS1_IjLj3EES5_S5_S5_, .Lfunc_end12-_ZL33flash_attn_stream_k_fixup_generalILi80ELi32ELi1EEvPfPK15HIP_vector_typeIfLj2EEiiiiS1_IjLj3EES5_S5_S5_
                                        ; -- End function
	.set _ZL33flash_attn_stream_k_fixup_generalILi80ELi32ELi1EEvPfPK15HIP_vector_typeIfLj2EEiiiiS1_IjLj3EES5_S5_S5_.num_vgpr, 12
	.set _ZL33flash_attn_stream_k_fixup_generalILi80ELi32ELi1EEvPfPK15HIP_vector_typeIfLj2EEiiiiS1_IjLj3EES5_S5_S5_.num_agpr, 0
	.set _ZL33flash_attn_stream_k_fixup_generalILi80ELi32ELi1EEvPfPK15HIP_vector_typeIfLj2EEiiiiS1_IjLj3EES5_S5_S5_.numbered_sgpr, 46
	.set _ZL33flash_attn_stream_k_fixup_generalILi80ELi32ELi1EEvPfPK15HIP_vector_typeIfLj2EEiiiiS1_IjLj3EES5_S5_S5_.num_named_barrier, 0
	.set _ZL33flash_attn_stream_k_fixup_generalILi80ELi32ELi1EEvPfPK15HIP_vector_typeIfLj2EEiiiiS1_IjLj3EES5_S5_S5_.private_seg_size, 0
	.set _ZL33flash_attn_stream_k_fixup_generalILi80ELi32ELi1EEvPfPK15HIP_vector_typeIfLj2EEiiiiS1_IjLj3EES5_S5_S5_.uses_vcc, 1
	.set _ZL33flash_attn_stream_k_fixup_generalILi80ELi32ELi1EEvPfPK15HIP_vector_typeIfLj2EEiiiiS1_IjLj3EES5_S5_S5_.uses_flat_scratch, 0
	.set _ZL33flash_attn_stream_k_fixup_generalILi80ELi32ELi1EEvPfPK15HIP_vector_typeIfLj2EEiiiiS1_IjLj3EES5_S5_S5_.has_dyn_sized_stack, 0
	.set _ZL33flash_attn_stream_k_fixup_generalILi80ELi32ELi1EEvPfPK15HIP_vector_typeIfLj2EEiiiiS1_IjLj3EES5_S5_S5_.has_recursion, 0
	.set _ZL33flash_attn_stream_k_fixup_generalILi80ELi32ELi1EEvPfPK15HIP_vector_typeIfLj2EEiiiiS1_IjLj3EES5_S5_S5_.has_indirect_call, 0
	.section	.AMDGPU.csdata,"",@progbits
; Kernel info:
; codeLenInByte = 3344
; TotalNumSgprs: 48
; NumVgprs: 12
; ScratchSize: 0
; MemoryBound: 0
; FloatMode: 240
; IeeeMode: 1
; LDSByteSize: 0 bytes/workgroup (compile time only)
; SGPRBlocks: 0
; VGPRBlocks: 0
; NumSGPRsForWavesPerEU: 48
; NumVGPRsForWavesPerEU: 12
; NamedBarCnt: 0
; Occupancy: 16
; WaveLimiterHint : 0
; COMPUTE_PGM_RSRC2:SCRATCH_EN: 0
; COMPUTE_PGM_RSRC2:USER_SGPR: 2
; COMPUTE_PGM_RSRC2:TRAP_HANDLER: 0
; COMPUTE_PGM_RSRC2:TGID_X_EN: 1
; COMPUTE_PGM_RSRC2:TGID_Y_EN: 1
; COMPUTE_PGM_RSRC2:TGID_Z_EN: 1
; COMPUTE_PGM_RSRC2:TIDIG_COMP_CNT: 0
	.section	.text._ZL26flash_attn_combine_resultsILi80EEvPKfPK15HIP_vector_typeIfLj2EEPfi,"axG",@progbits,_ZL26flash_attn_combine_resultsILi80EEvPKfPK15HIP_vector_typeIfLj2EEPfi,comdat
	.globl	_ZL26flash_attn_combine_resultsILi80EEvPKfPK15HIP_vector_typeIfLj2EEPfi ; -- Begin function _ZL26flash_attn_combine_resultsILi80EEvPKfPK15HIP_vector_typeIfLj2EEPfi
	.p2align	8
	.type	_ZL26flash_attn_combine_resultsILi80EEvPKfPK15HIP_vector_typeIfLj2EEPfi,@function
_ZL26flash_attn_combine_resultsILi80EEvPKfPK15HIP_vector_typeIfLj2EEPfi: ; @_ZL26flash_attn_combine_resultsILi80EEvPKfPK15HIP_vector_typeIfLj2EEPfi
; %bb.0:
	s_clause 0x2
	s_load_b128 s[4:7], s[0:1], 0x0
	s_load_b96 s[8:10], s[0:1], 0x10
	s_load_b64 s[2:3], s[0:1], 0x20
	s_bfe_u32 s11, ttmp6, 0x4000c
	s_wait_xcnt 0x0
	s_and_b32 s0, ttmp6, 15
	s_add_co_i32 s11, s11, 1
	s_and_b32 s12, ttmp7, 0xffff
	s_mul_i32 s1, ttmp9, s11
	s_bfe_u32 s11, ttmp6, 0x40010
	s_bfe_u32 s13, ttmp6, 0x40014
	s_add_co_i32 s11, s11, 1
	s_add_co_i32 s0, s0, s1
	s_mul_i32 s1, s12, s11
	s_bfe_u32 s11, ttmp6, 0x40004
	s_lshr_b32 s14, ttmp7, 16
	s_add_co_i32 s13, s13, 1
	s_add_co_i32 s11, s11, s1
	s_mul_i32 s1, s14, s13
	s_bfe_u32 s13, ttmp6, 0x40008
	s_getreg_b32 s15, hwreg(HW_REG_IB_STS2, 6, 4)
	s_add_co_i32 s13, s13, s1
	s_cmp_eq_u32 s15, 0
	v_mov_b32_e32 v2, v0
	s_cselect_b32 s1, s14, s13
	s_cselect_b32 s0, ttmp9, s0
	s_wait_kmcnt 0x0
	s_mul_i32 s1, s2, s1
	s_cselect_b32 s2, s12, s11
	s_add_co_i32 s0, s1, s0
	s_lshl_b32 s12, s10, 1
	s_mul_i32 s11, s0, s3
	s_mov_b32 s13, exec_lo
	s_add_co_i32 s11, s11, s2
	s_delay_alu instid0(SALU_CYCLE_1)
	s_mul_i32 s2, s11, s10
	v_cmpx_gt_i32_e64 s12, v0
	s_cbranch_execz .LBB13_13
; %bb.1:
	v_xad_u32 v1, v0, -1, s12
	s_ashr_i32 s3, s2, 31
	s_mov_b32 s0, -1
	s_mov_b32 s14, exec_lo
	s_delay_alu instid0(VALU_DEP_1)
	v_cmpx_lt_u32_e32 0x4f, v1
	s_cbranch_execz .LBB13_10
; %bb.2:
	v_mul_hi_u32 v1, 0xcccccccd, v1
	s_lshl_b64 s[0:1], s[2:3], 3
	v_mov_b32_e32 v4, 0
	s_add_nc_u64 s[0:1], s[6:7], s[0:1]
	s_delay_alu instid0(VALU_DEP_2) | instskip(SKIP_1) | instid1(VALU_DEP_2)
	v_lshrrev_b32_e32 v6, 6, v1
	v_add_nc_u32_e32 v1, 0x50, v0
	v_add_nc_u32_e32 v2, -1, v6
	s_delay_alu instid0(VALU_DEP_1) | instskip(SKIP_1) | instid1(VALU_DEP_2)
	v_lshrrev_b32_e32 v3, 1, v2
	v_cmp_lt_u32_e32 vcc_lo, 13, v2
	v_add_nc_u32_e32 v7, 1, v3
	v_mov_b64_e32 v[2:3], v[0:1]
	s_and_saveexec_b32 s15, vcc_lo
	s_cbranch_execz .LBB13_6
; %bb.3:
	v_mov_b64_e32 v[2:3], v[0:1]
	v_dual_mov_b32 v5, 0 :: v_dual_bitop2_b32 v8, -8, v7 bitop3:0x40
	v_lshl_add_u32 v9, v0, 2, 0
	s_mov_b32 s16, 0
	s_mov_b32 s17, 0
.LBB13_4:                               ; =>This Inner Loop Header: Depth=1
	s_delay_alu instid0(VALU_DEP_2) | instskip(NEXT) | instid1(VALU_DEP_4)
	v_dual_mov_b32 v4, v2 :: v_dual_mov_b32 v11, v5
	v_dual_mov_b32 v13, v5 :: v_dual_add_nc_u32 v10, 0xa0, v3
	v_dual_mov_b32 v15, v5 :: v_dual_add_nc_u32 v12, 0x140, v3
	s_delay_alu instid0(VALU_DEP_3) | instskip(SKIP_1) | instid1(VALU_DEP_4)
	v_lshl_add_u64 v[24:25], v[4:5], 2, s[0:1]
	v_mov_b32_e32 v4, v3
	v_lshl_add_u64 v[10:11], v[10:11], 2, s[0:1]
	s_delay_alu instid0(VALU_DEP_4) | instskip(SKIP_1) | instid1(VALU_DEP_4)
	v_lshl_add_u64 v[12:13], v[12:13], 2, s[0:1]
	v_dual_mov_b32 v17, v5 :: v_dual_add_nc_u32 v14, 0x1e0, v3
	v_lshl_add_u64 v[26:27], v[4:5], 2, s[0:1]
	v_add_nc_u32_e32 v4, 0xa0, v2
	global_load_b32 v1, v[24:25], off
	v_dual_mov_b32 v19, v5 :: v_dual_add_nc_u32 v16, 0x280, v3
	global_load_b32 v28, v[26:27], off
	s_wait_xcnt 0x1
	v_lshl_add_u64 v[24:25], v[4:5], 2, s[0:1]
	v_add_nc_u32_e32 v4, 0x140, v2
	s_clause 0x1
	global_load_b32 v29, v[24:25], off
	global_load_b32 v30, v[10:11], off
	s_wait_xcnt 0x2
	v_lshl_add_u64 v[26:27], v[4:5], 2, s[0:1]
	v_add_nc_u32_e32 v4, 0x1e0, v2
	v_lshl_add_u64 v[14:15], v[14:15], 2, s[0:1]
	v_dual_mov_b32 v21, v5 :: v_dual_add_nc_u32 v18, 0x320, v3
	global_load_b32 v26, v[26:27], off
	s_wait_xcnt 0x1
	v_lshl_add_u64 v[10:11], v[4:5], 2, s[0:1]
	v_add_nc_u32_e32 v4, 0x280, v2
	global_load_b32 v27, v[12:13], off
	v_dual_mov_b32 v23, v5 :: v_dual_add_nc_u32 v20, 0x3c0, v3
	s_clause 0x1
	global_load_b32 v31, v[10:11], off
	global_load_b32 v32, v[14:15], off
	v_lshl_add_u64 v[24:25], v[4:5], 2, s[0:1]
	v_add_nc_u32_e32 v4, 0x320, v2
	v_add_nc_u32_e32 v22, 0x460, v3
	v_lshl_add_u64 v[16:17], v[16:17], 2, s[0:1]
	v_lshl_add_u64 v[18:19], v[18:19], 2, s[0:1]
	;; [unrolled: 1-line block ×3, first 2 shown]
	s_wait_xcnt 0x2
	v_lshl_add_u64 v[12:13], v[4:5], 2, s[0:1]
	v_add_nc_u32_e32 v4, 0x3c0, v2
	s_clause 0x2
	global_load_b32 v14, v[24:25], off
	global_load_b32 v15, v[16:17], off
	;; [unrolled: 1-line block ×3, first 2 shown]
	v_lshl_add_u64 v[22:23], v[22:23], 2, s[0:1]
	v_add_nc_u32_e32 v8, -8, v8
	v_lshl_add_u64 v[10:11], v[4:5], 2, s[0:1]
	v_add_nc_u32_e32 v4, 0x460, v2
	s_add_co_i32 s17, s17, 16
	v_add_nc_u32_e32 v3, 0x500, v3
	v_cmp_eq_u32_e32 vcc_lo, 0, v8
	v_add_nc_u32_e32 v2, 0x500, v2
	s_wait_xcnt 0x0
	v_lshl_add_u64 v[12:13], v[4:5], 2, s[0:1]
	s_clause 0x4
	global_load_b32 v16, v[18:19], off
	global_load_b32 v17, v[10:11], off
	;; [unrolled: 1-line block ×5, first 2 shown]
	s_wait_xcnt 0x3
	v_add_nc_u32_e32 v10, 0x400, v9
	v_add_nc_u32_e32 v11, 0x600, v9
	s_wait_xcnt 0x1
	v_add_nc_u32_e32 v12, 0x800, v9
	v_dual_mov_b32 v4, s17 :: v_dual_add_nc_u32 v13, 0xc00, v9
	v_add_nc_u32_e32 v18, 0xe00, v9
	v_add_nc_u32_e32 v19, 0x1000, v9
	s_or_b32 s16, vcc_lo, s16
	s_wait_loadcnt 0xe
	ds_store_2addr_b32 v9, v1, v28 offset1:80
	s_wait_loadcnt 0xc
	ds_store_2addr_b32 v9, v29, v30 offset0:160 offset1:240
	v_add_nc_u32_e32 v9, 0x1400, v9
	s_wait_loadcnt 0xa
	ds_store_2addr_b32 v10, v26, v27 offset0:64 offset1:144
	s_wait_loadcnt 0x8
	ds_store_2addr_b32 v11, v31, v32 offset0:96 offset1:176
	;; [unrolled: 2-line block ×6, first 2 shown]
	s_wait_xcnt 0x0
	s_and_not1_b32 exec_lo, exec_lo, s16
	s_cbranch_execnz .LBB13_4
; %bb.5:
	s_or_b32 exec_lo, exec_lo, s16
.LBB13_6:
	s_delay_alu instid0(SALU_CYCLE_1) | instskip(SKIP_3) | instid1(VALU_DEP_1)
	s_or_b32 exec_lo, exec_lo, s15
	v_and_b32_e32 v1, 7, v7
	s_mov_b32 s16, 0
	s_mov_b32 s15, exec_lo
	v_cmpx_ne_u32_e32 0, v1
	s_cbranch_execz .LBB13_9
; %bb.7:
	v_mul_lo_u32 v4, 0x140, v4
	v_lshlrev_b32_e32 v5, 2, v0
	s_delay_alu instid0(VALU_DEP_1)
	v_add3_u32 v7, v4, v5, 0
	v_mov_b32_e32 v5, 0
.LBB13_8:                               ; =>This Inner Loop Header: Depth=1
	v_dual_mov_b32 v4, v2 :: v_dual_add_nc_u32 v1, -1, v1
	v_add_nc_u32_e32 v2, 0xa0, v2
	s_delay_alu instid0(VALU_DEP_2) | instskip(SKIP_1) | instid1(VALU_DEP_4)
	v_lshl_add_u64 v[8:9], v[4:5], 2, s[0:1]
	v_dual_mov_b32 v4, v3 :: v_dual_add_nc_u32 v3, 0xa0, v3
	v_cmp_eq_u32_e32 vcc_lo, 0, v1
	s_delay_alu instid0(VALU_DEP_2)
	v_lshl_add_u64 v[10:11], v[4:5], 2, s[0:1]
	s_clause 0x1
	global_load_b32 v4, v[8:9], off
	global_load_b32 v12, v[10:11], off
	s_or_b32 s16, vcc_lo, s16
	s_wait_loadcnt 0x0
	ds_store_2addr_b32 v7, v4, v12 offset1:80
	v_add_nc_u32_e32 v7, 0x280, v7
	s_and_not1_b32 exec_lo, exec_lo, s16
	s_cbranch_execnz .LBB13_8
.LBB13_9:
	s_or_b32 exec_lo, exec_lo, s15
	v_add_nc_u32_e32 v1, 1, v6
	s_delay_alu instid0(VALU_DEP_1) | instskip(NEXT) | instid1(VALU_DEP_1)
	v_and_b32_e32 v3, 0x7fffffe, v1
	v_mad_u32 v2, 0x50, v3, v0
	v_cmp_ne_u32_e32 vcc_lo, v1, v3
	s_or_not1_b32 s0, vcc_lo, exec_lo
.LBB13_10:
	s_or_b32 exec_lo, exec_lo, s14
	s_delay_alu instid0(SALU_CYCLE_1)
	s_and_b32 exec_lo, exec_lo, s0
	s_cbranch_execz .LBB13_13
; %bb.11:
	v_mov_b32_e32 v3, 0
	s_lshl_b64 s[0:1], s[2:3], 3
	s_delay_alu instid0(VALU_DEP_3)
	v_lshl_add_u32 v1, v2, 2, 0
	s_add_nc_u64 s[0:1], s[6:7], s[0:1]
	s_delay_alu instid0(VALU_DEP_2) | instid1(SALU_CYCLE_1)
	v_lshl_add_u64 v[4:5], v[2:3], 2, s[0:1]
	s_mov_b32 s0, 0
.LBB13_12:                              ; =>This Inner Loop Header: Depth=1
	global_load_b32 v3, v[4:5], off
	v_add_nc_u32_e32 v2, 0x50, v2
	s_wait_xcnt 0x0
	v_add_nc_u64_e32 v[4:5], 0x140, v[4:5]
	s_delay_alu instid0(VALU_DEP_2)
	v_cmp_le_i32_e32 vcc_lo, s12, v2
	s_or_b32 s0, vcc_lo, s0
	s_wait_loadcnt 0x0
	ds_store_b32 v1, v3
	v_add_nc_u32_e32 v1, 0x140, v1
	s_and_not1_b32 exec_lo, exec_lo, s0
	s_cbranch_execnz .LBB13_12
.LBB13_13:
	s_or_b32 exec_lo, exec_lo, s13
	v_mov_b32_e32 v1, 0
	s_wait_dscnt 0x0
	s_barrier_signal -1
	s_barrier_wait -1
	ds_load_b32 v1, v1
	s_cmp_lt_i32 s10, 2
	s_wait_dscnt 0x0
	v_readfirstlane_b32 s6, v1
	s_cbranch_scc1 .LBB13_21
; %bb.14:
	s_cmp_eq_u32 s10, 2
	s_cbranch_scc1 .LBB13_18
; %bb.15:
	v_dual_mov_b32 v3, s6 :: v_dual_mov_b32 v4, s6
	s_add_co_i32 s1, s10, -1
	s_add_co_i32 s7, 0, 8
	s_and_b32 s3, s1, -2
	s_mov_b32 s6, 2
.LBB13_16:                              ; =>This Inner Loop Header: Depth=1
	v_dual_mov_b32 v1, s7 :: v_dual_mov_b32 v2, v3
	s_cmp_lg_u32 s3, s6
	s_cselect_b32 s12, -1, 0
	ds_load_2addr_b32 v[6:7], v1 offset1:2
	v_dual_mov_b32 v1, v4 :: v_dual_max_num_f32 v5, v2, v2
	s_delay_alu instid0(VALU_DEP_1)
	v_max_num_f32_e32 v3, v1, v1
	s_wait_dscnt 0x0
	v_cmp_u_f32_e32 vcc_lo, v7, v7
	v_max_num_f32_e32 v7, v7, v7
	v_cndmask_b32_e64 v4, 0, 1, vcc_lo
	v_cmp_u_f32_e32 vcc_lo, v6, v6
	v_max_num_f32_e32 v6, v6, v6
	s_delay_alu instid0(VALU_DEP_3) | instskip(SKIP_1) | instid1(VALU_DEP_3)
	v_readfirstlane_b32 s0, v4
	v_cndmask_b32_e64 v8, 0, 1, vcc_lo
	v_dual_max_num_f32 v4, v3, v7 :: v_dual_max_num_f32 v3, v5, v6
	s_lshl_b32 s0, s0, 1
	s_delay_alu instid0(VALU_DEP_2) | instskip(SKIP_1) | instid1(SALU_CYCLE_1)
	v_readfirstlane_b32 s13, v8
	s_or_b32 s0, s13, s0
	s_and_b32 s13, s0, 3
	s_delay_alu instid0(SALU_CYCLE_1)
	s_cmp_lg_u32 s13, 0
	s_cselect_b32 s0, -1, 0
	s_cmp_eq_u32 s13, 0
	s_cselect_b32 s13, -1, 0
	s_add_co_i32 s6, s6, 2
	s_and_b32 s12, s13, s12
	s_add_co_i32 s7, s7, 16
	s_and_b32 vcc_lo, exec_lo, s12
	s_cbranch_vccnz .LBB13_16
; %bb.17:
	v_dual_cndmask_b32 v2, v3, v2, s0 :: v_dual_cndmask_b32 v1, v4, v1, s0
	s_add_co_i32 s6, s6, -4
	s_and_b32 s7, s0, exec_lo
	s_cselect_b32 s6, s6, s1
	s_delay_alu instid0(VALU_DEP_1) | instskip(SKIP_3) | instid1(VALU_DEP_1)
	v_dual_max_num_f32 v2, v2, v2 :: v_dual_max_num_f32 v1, v1, v1
	s_or_b32 s7, s6, 1
	s_cmp_lg_u32 s1, s3
	s_cselect_b32 s1, -1, 0
	v_readfirstlane_b32 s12, v2
	v_readfirstlane_b32 s13, v1
	s_or_b32 s0, s1, s0
	s_max_num_f32 s6, s12, s13
	s_and_b32 vcc_lo, exec_lo, s0
	s_cbranch_vccnz .LBB13_19
	s_branch .LBB13_21
.LBB13_18:
	s_mov_b32 s7, 1
	s_cbranch_execz .LBB13_21
.LBB13_19:
	s_lshl_b32 s1, s7, 3
	s_sub_co_i32 s0, s10, s7
	s_add_co_i32 s1, s1, 0
.LBB13_20:                              ; =>This Inner Loop Header: Depth=1
	s_delay_alu instid0(SALU_CYCLE_1) | instskip(NEXT) | instid1(SALU_CYCLE_1)
	v_mov_b32_e32 v1, s1
	v_max_num_f32_e64 v2, s6, s6
	s_add_co_i32 s0, s0, -1
	s_add_co_i32 s1, s1, 8
	s_cmp_eq_u32 s0, 0
	ds_load_b32 v1, v1
	v_readfirstlane_b32 s3, v2
	s_wait_dscnt 0x0
	v_max_num_f32_e32 v1, v1, v1
	s_delay_alu instid0(VALU_DEP_1)
	v_readfirstlane_b32 s6, v1
	s_max_num_f32 s6, s3, s6
	s_cbranch_scc0 .LBB13_20
.LBB13_21:
	s_cmp_lt_i32 s10, 1
	s_cbranch_scc1 .LBB13_26
; %bb.22:
	s_mul_i32 s0, s2, 0x50
	s_delay_alu instid0(SALU_CYCLE_1)
	s_ashr_i32 s1, s0, 31
	s_cmp_lt_u32 s10, 8
	s_cbranch_scc1 .LBB13_27
; %bb.23:
	v_dual_mov_b32 v2, 0 :: v_dual_add_nc_u32 v1, 0x140, v0
	s_lshl_b64 s[2:3], s[0:1], 2
	s_and_b32 s7, s10, 0x7ffffff8
	s_add_nc_u64 s[2:3], s[4:5], s[2:3]
	s_delay_alu instid0(VALU_DEP_1)
	v_mov_b32_e32 v3, v2
	s_mov_b32 s12, 0
	s_mov_b32 s13, 0
.LBB13_24:                              ; =>This Inner Loop Header: Depth=1
	v_add_nc_u32_e32 v4, 0xfffffec0, v1
	v_dual_mov_b32 v16, s13 :: v_dual_add_nc_u32 v5, 0xffffff10, v1
	s_clause 0x1
	global_load_b32 v21, v4, s[2:3] scale_offset
	global_load_b32 v23, v5, s[2:3] scale_offset
	s_wait_xcnt 0x1
	v_add_nc_u32_e32 v4, 0xffffff60, v1
	s_wait_xcnt 0x0
	v_add_nc_u32_e32 v5, 0xffffffb0, v1
	s_clause 0x2
	global_load_b32 v25, v4, s[2:3] scale_offset
	global_load_b32 v27, v5, s[2:3] scale_offset
	;; [unrolled: 1-line block ×3, first 2 shown]
	s_wait_xcnt 0x2
	v_add_nc_u32_e32 v4, 0x50, v1
	s_wait_xcnt 0x1
	v_add_nc_u32_e32 v5, 0xa0, v1
	global_load_b32 v31, v4, s[2:3] scale_offset
	s_wait_xcnt 0x0
	v_add_nc_u32_e32 v4, 0xf0, v1
	s_clause 0x1
	global_load_b32 v33, v5, s[2:3] scale_offset
	global_load_b32 v35, v4, s[2:3] scale_offset
	s_wait_xcnt 0x0
	ds_load_2addr_b64 v[4:7], v16 offset1:1
	ds_load_2addr_b64 v[8:11], v16 offset0:2 offset1:3
	ds_load_2addr_b64 v[12:15], v16 offset0:4 offset1:5
	;; [unrolled: 1-line block ×3, first 2 shown]
	v_add_nc_u32_e32 v1, 0x280, v1
	s_wait_dscnt 0x3
	v_readfirstlane_b32 s14, v4
	v_readfirstlane_b32 s15, v6
	s_wait_dscnt 0x2
	v_readfirstlane_b32 s16, v8
	v_dual_mov_b32 v20, v5 :: v_dual_mov_b32 v26, v11
	s_sub_f32 s14, s14, s6
	s_sub_f32 s15, s15, s6
	;; [unrolled: 1-line block ×3, first 2 shown]
	v_readfirstlane_b32 s17, v10
	s_mul_f32 s22, s14, 0x3fb8aa3b
	s_mul_f32 s23, s15, 0x3fb8aa3b
	;; [unrolled: 1-line block ×3, first 2 shown]
	s_wait_dscnt 0x1
	v_readfirstlane_b32 s18, v12
	s_xor_b32 s30, s22, 0x80000000
	s_rndne_f32 s31, s22
	s_fmamk_f32 s30, s14, 0x3fb8aa3b, s30
	s_cmp_nlt_f32 s14, 0xc2ce8ed0
	s_rndne_f32 s33, s23
	s_sub_f32 s22, s22, s31
	s_fmamk_f32 s30, s14, 0x32a5705f, s30
	s_cvt_i32_f32 s31, s31
	s_cselect_b32 vcc_lo, -1, 0
	s_cmp_ngt_f32 s14, 0x42b17218
	s_add_f32 s22, s22, s30
	s_sub_f32 s40, s23, s33
	s_cvt_i32_f32 s33, s33
	s_rndne_f32 s34, s24
	v_s_exp_f32 s22, s22
	s_sub_f32 s17, s17, s6
	s_sub_f32 s18, s18, s6
	;; [unrolled: 1-line block ×3, first 2 shown]
	s_cvt_i32_f32 s34, s34
	s_mul_f32 s25, s17, 0x3fb8aa3b
	s_mul_f32 s26, s18, 0x3fb8aa3b
	v_readfirstlane_b32 s19, v14
	v_ldexp_f32 v4, s22, s31
	s_wait_dscnt 0x0
	v_mov_b32_e32 v32, v17
	s_rndne_f32 s35, s25
	s_rndne_f32 s36, s26
	s_sub_f32 s19, s19, s6
	v_cndmask_b32_e32 v4, 0, v4, vcc_lo
	s_cselect_b32 vcc_lo, -1, 0
	s_xor_b32 s14, s23, 0x80000000
	s_cmp_nlt_f32 s15, 0xc2ce8ed0
	s_fmamk_f32 s14, s15, 0x3fb8aa3b, s14
	v_cndmask_b32_e32 v4, 0x7f800000, v4, vcc_lo
	s_sub_f32 s42, s25, s35
	s_cselect_b32 vcc_lo, -1, 0
	s_fmamk_f32 s14, s15, 0x32a5705f, s14
	s_cmp_ngt_f32 s15, 0x42b17218
	s_cvt_i32_f32 s35, s35
	s_sub_f32 s43, s26, s36
	s_add_f32 s14, s40, s14
	s_cvt_i32_f32 s36, s36
	s_mul_f32 s27, s19, 0x3fb8aa3b
	v_readfirstlane_b32 s20, v16
	v_s_exp_f32 s14, s14
	v_readfirstlane_b32 s21, v18
	s_rndne_f32 s37, s27
	v_mov_b32_e32 v22, v7
	s_sub_f32 s20, s20, s6
	v_dual_mov_b32 v24, v9 :: v_dual_mov_b32 v34, v19
	s_sub_f32 s44, s27, s37
	s_delay_alu instid0(TRANS32_DEP_1)
	v_ldexp_f32 v5, s14, s33
	s_cvt_i32_f32 s37, s37
	s_mul_f32 s28, s20, 0x3fb8aa3b
	s_sub_f32 s21, s21, s6
	v_dual_mov_b32 v28, v13 :: v_dual_mov_b32 v30, v15
	v_cndmask_b32_e32 v5, 0, v5, vcc_lo
	s_cselect_b32 vcc_lo, -1, 0
	s_xor_b32 s14, s24, 0x80000000
	s_cmp_nlt_f32 s16, 0xc2ce8ed0
	s_fmamk_f32 s14, s16, 0x3fb8aa3b, s14
	v_cndmask_b32_e32 v6, 0x7f800000, v5, vcc_lo
	s_rndne_f32 s38, s28
	s_cselect_b32 vcc_lo, -1, 0
	s_fmamk_f32 s14, s16, 0x32a5705f, s14
	s_cmp_ngt_f32 s16, 0x42b17218
	s_sub_f32 s45, s28, s38
	s_cvt_i32_f32 s38, s38
	s_add_f32 s14, s41, s14
	s_mul_f32 s29, s21, 0x3fb8aa3b
	s_delay_alu instid0(SALU_CYCLE_2) | instskip(NEXT) | instid1(SALU_CYCLE_2)
	v_s_exp_f32 s14, s14
	s_rndne_f32 s39, s29
	s_delay_alu instid0(SALU_CYCLE_3) | instskip(SKIP_2) | instid1(TRANS32_DEP_1)
	s_sub_f32 s46, s29, s39
	s_cvt_i32_f32 s39, s39
	v_nop
	v_ldexp_f32 v5, s14, s34
	s_delay_alu instid0(VALU_DEP_1)
	v_cndmask_b32_e32 v5, 0, v5, vcc_lo
	s_cselect_b32 vcc_lo, -1, 0
	s_xor_b32 s14, s25, 0x80000000
	s_cmp_nlt_f32 s17, 0xc2ce8ed0
	s_fmamk_f32 s14, s17, 0x3fb8aa3b, s14
	v_cndmask_b32_e32 v8, 0x7f800000, v5, vcc_lo
	s_cselect_b32 vcc_lo, -1, 0
	s_delay_alu instid0(SALU_CYCLE_1) | instskip(SKIP_1) | instid1(SALU_CYCLE_2)
	s_fmamk_f32 s14, s17, 0x32a5705f, s14
	s_cmp_ngt_f32 s17, 0x42b17218
	s_add_f32 s14, s42, s14
	s_delay_alu instid0(SALU_CYCLE_3) | instskip(SKIP_1) | instid1(TRANS32_DEP_1)
	v_s_exp_f32 s14, s14
	v_nop
	v_ldexp_f32 v5, s14, s35
	s_delay_alu instid0(VALU_DEP_1)
	v_cndmask_b32_e32 v5, 0, v5, vcc_lo
	s_cselect_b32 vcc_lo, -1, 0
	s_xor_b32 s14, s26, 0x80000000
	s_cmp_nlt_f32 s18, 0xc2ce8ed0
	s_fmamk_f32 s14, s18, 0x3fb8aa3b, s14
	v_cndmask_b32_e32 v10, 0x7f800000, v5, vcc_lo
	s_cselect_b32 vcc_lo, -1, 0
	s_delay_alu instid0(SALU_CYCLE_1) | instskip(SKIP_1) | instid1(SALU_CYCLE_2)
	s_fmamk_f32 s14, s18, 0x32a5705f, s14
	s_cmp_ngt_f32 s18, 0x42b17218
	s_add_f32 s14, s43, s14
	s_delay_alu instid0(SALU_CYCLE_3) | instskip(SKIP_1) | instid1(TRANS32_DEP_1)
	v_s_exp_f32 s14, s14
	;; [unrolled: 16-line block ×4, first 2 shown]
	v_nop
	v_ldexp_f32 v5, s14, s38
	s_delay_alu instid0(VALU_DEP_1) | instskip(SKIP_4) | instid1(SALU_CYCLE_3)
	v_cndmask_b32_e32 v5, 0, v5, vcc_lo
	s_cselect_b32 vcc_lo, -1, 0
	s_xor_b32 s14, s29, 0x80000000
	s_cmp_nlt_f32 s21, 0xc2ce8ed0
	s_fmamk_f32 s14, s21, 0x3fb8aa3b, s14
	s_fmamk_f32 s14, s21, 0x32a5705f, s14
	s_delay_alu instid0(SALU_CYCLE_3) | instskip(NEXT) | instid1(SALU_CYCLE_3)
	s_add_f32 s14, s46, s14
	v_s_exp_f32 s14, s14
	s_wait_loadcnt 0x7
	v_pk_fma_f32 v[2:3], v[4:5], v[20:21], v[2:3] op_sel_hi:[0,1,1]
	v_cndmask_b32_e32 v4, 0x7f800000, v5, vcc_lo
	s_delay_alu instid0(TRANS32_DEP_1)
	v_ldexp_f32 v5, s14, s39
	s_cselect_b32 vcc_lo, -1, 0
	s_cmp_ngt_f32 s21, 0x42b17218
	s_wait_loadcnt 0x6
	v_pk_fma_f32 v[2:3], v[6:7], v[22:23], v[2:3] op_sel_hi:[0,1,1]
	v_cndmask_b32_e32 v5, 0, v5, vcc_lo
	s_cselect_b32 vcc_lo, -1, 0
	s_add_co_i32 s12, s12, 8
	s_wait_loadcnt 0x5
	v_pk_fma_f32 v[2:3], v[8:9], v[24:25], v[2:3] op_sel_hi:[0,1,1]
	s_add_co_i32 s13, s13, 64
	v_cndmask_b32_e32 v6, 0x7f800000, v5, vcc_lo
	s_cmp_eq_u32 s7, s12
	s_wait_loadcnt 0x4
	v_pk_fma_f32 v[2:3], v[10:11], v[26:27], v[2:3] op_sel_hi:[0,1,1]
	s_wait_loadcnt 0x3
	s_delay_alu instid0(VALU_DEP_1) | instskip(SKIP_1) | instid1(VALU_DEP_1)
	v_pk_fma_f32 v[2:3], v[12:13], v[28:29], v[2:3] op_sel_hi:[0,1,1]
	s_wait_loadcnt 0x2
	v_pk_fma_f32 v[2:3], v[14:15], v[30:31], v[2:3] op_sel_hi:[0,1,1]
	s_wait_loadcnt 0x1
	s_delay_alu instid0(VALU_DEP_1) | instskip(SKIP_1) | instid1(VALU_DEP_1)
	v_pk_fma_f32 v[2:3], v[4:5], v[32:33], v[2:3] op_sel_hi:[0,1,1]
	s_wait_loadcnt 0x0
	v_pk_fma_f32 v[2:3], v[6:7], v[34:35], v[2:3] op_sel_hi:[0,1,1]
	s_cbranch_scc0 .LBB13_24
; %bb.25:
	s_and_b32 s2, s10, 7
	s_delay_alu instid0(SALU_CYCLE_1)
	s_cmp_eq_u32 s2, 0
	s_cbranch_scc0 .LBB13_28
	s_branch .LBB13_30
.LBB13_26:
	v_mov_b32_e32 v1, 0x7fc00000
	s_branch .LBB13_31
.LBB13_27:
	v_mov_b64_e32 v[2:3], 0
	s_mov_b32 s7, 0
	s_and_b32 s2, s10, 7
	s_delay_alu instid0(SALU_CYCLE_1)
	s_cmp_eq_u32 s2, 0
	s_cbranch_scc1 .LBB13_30
.LBB13_28:
	v_mad_u32 v4, 0x50, s7, v0
	v_mov_b32_e32 v5, 0
	s_lshl_b64 s[0:1], s[0:1], 2
	s_delay_alu instid0(SALU_CYCLE_1)
	s_add_nc_u64 s[0:1], s[4:5], s[0:1]
	s_delay_alu instid0(VALU_DEP_1) | instid1(SALU_CYCLE_1)
	v_lshl_add_u64 v[4:5], v[4:5], 2, s[0:1]
	s_lshl_b32 s0, s7, 3
	s_delay_alu instid0(SALU_CYCLE_1)
	s_add_co_i32 s0, s0, 0
.LBB13_29:                              ; =>This Inner Loop Header: Depth=1
	global_load_b32 v7, v[4:5], off
	v_mov_b32_e32 v1, s0
	s_wait_xcnt 0x0
	v_add_nc_u64_e32 v[4:5], 0x140, v[4:5]
	ds_load_b64 v[8:9], v1
	s_wait_dscnt 0x0
	v_readfirstlane_b32 s1, v8
	v_mov_b32_e32 v6, v9
	s_sub_f32 s1, s1, s6
	s_delay_alu instid0(SALU_CYCLE_3) | instskip(NEXT) | instid1(SALU_CYCLE_3)
	s_mul_f32 s3, s1, 0x3fb8aa3b
	s_xor_b32 s4, s3, 0x80000000
	s_rndne_f32 s5, s3
	s_fmamk_f32 s4, s1, 0x3fb8aa3b, s4
	s_cmp_nlt_f32 s1, 0xc2ce8ed0
	s_delay_alu instid0(SALU_CYCLE_1) | instskip(NEXT) | instid1(SALU_CYCLE_1)
	s_sub_f32 s3, s3, s5
	s_fmamk_f32 s4, s1, 0x32a5705f, s4
	s_cselect_b32 vcc_lo, -1, 0
	s_cmp_ngt_f32 s1, 0x42b17218
	s_delay_alu instid0(SALU_CYCLE_1) | instskip(SKIP_1) | instid1(SALU_CYCLE_2)
	s_add_f32 s3, s3, s4
	s_cvt_i32_f32 s4, s5
	v_s_exp_f32 s3, s3
	v_nop
	s_delay_alu instid0(TRANS32_DEP_1) | instid1(SALU_CYCLE_1)
	v_ldexp_f32 v1, s3, s4
	s_delay_alu instid0(VALU_DEP_1)
	v_cndmask_b32_e32 v1, 0, v1, vcc_lo
	s_cselect_b32 vcc_lo, -1, 0
	s_add_co_i32 s2, s2, -1
	s_add_co_i32 s0, s0, 8
	s_cmp_lg_u32 s2, 0
	v_cndmask_b32_e32 v8, 0x7f800000, v1, vcc_lo
	s_wait_loadcnt 0x0
	s_delay_alu instid0(VALU_DEP_1)
	v_pk_fma_f32 v[2:3], v[8:9], v[6:7], v[2:3] op_sel_hi:[0,1,1]
	s_cbranch_scc1 .LBB13_29
.LBB13_30:
	s_delay_alu instid0(VALU_DEP_1) | instskip(NEXT) | instid1(VALU_DEP_1)
	v_div_scale_f32 v1, null, v2, v2, v3
	v_rcp_f32_e32 v4, v1
	v_nop
	s_delay_alu instid0(TRANS32_DEP_1) | instskip(NEXT) | instid1(VALU_DEP_1)
	v_fma_f32 v5, -v1, v4, 1.0
	v_fmac_f32_e32 v4, v5, v4
	v_div_scale_f32 v5, vcc_lo, v3, v2, v3
	s_delay_alu instid0(VALU_DEP_1) | instskip(NEXT) | instid1(VALU_DEP_1)
	v_mul_f32_e32 v6, v5, v4
	v_fma_f32 v7, -v1, v6, v5
	s_delay_alu instid0(VALU_DEP_1) | instskip(NEXT) | instid1(VALU_DEP_1)
	v_fmac_f32_e32 v6, v7, v4
	v_fma_f32 v1, -v1, v6, v5
	s_delay_alu instid0(VALU_DEP_1) | instskip(NEXT) | instid1(VALU_DEP_1)
	v_div_fmas_f32 v1, v1, v4, v6
	v_div_fixup_f32 v1, v1, v2, v3
.LBB13_31:
	s_mul_i32 s0, s11, 0x50
	s_delay_alu instid0(SALU_CYCLE_1) | instskip(NEXT) | instid1(SALU_CYCLE_1)
	s_ashr_i32 s1, s0, 31
	s_lshl_b64 s[0:1], s[0:1], 2
	s_delay_alu instid0(SALU_CYCLE_1)
	s_add_nc_u64 s[0:1], s[8:9], s[0:1]
	global_store_b32 v0, v1, s[0:1] scale_offset
	s_endpgm
	.section	.rodata,"a",@progbits
	.p2align	6, 0x0
	.amdhsa_kernel _ZL26flash_attn_combine_resultsILi80EEvPKfPK15HIP_vector_typeIfLj2EEPfi
		.amdhsa_group_segment_fixed_size 0
		.amdhsa_private_segment_fixed_size 0
		.amdhsa_kernarg_size 288
		.amdhsa_user_sgpr_count 2
		.amdhsa_user_sgpr_dispatch_ptr 0
		.amdhsa_user_sgpr_queue_ptr 0
		.amdhsa_user_sgpr_kernarg_segment_ptr 1
		.amdhsa_user_sgpr_dispatch_id 0
		.amdhsa_user_sgpr_kernarg_preload_length 0
		.amdhsa_user_sgpr_kernarg_preload_offset 0
		.amdhsa_user_sgpr_private_segment_size 0
		.amdhsa_wavefront_size32 1
		.amdhsa_uses_dynamic_stack 0
		.amdhsa_enable_private_segment 0
		.amdhsa_system_sgpr_workgroup_id_x 1
		.amdhsa_system_sgpr_workgroup_id_y 1
		.amdhsa_system_sgpr_workgroup_id_z 1
		.amdhsa_system_sgpr_workgroup_info 0
		.amdhsa_system_vgpr_workitem_id 0
		.amdhsa_next_free_vgpr 36
		.amdhsa_next_free_sgpr 47
		.amdhsa_named_barrier_count 0
		.amdhsa_reserve_vcc 1
		.amdhsa_float_round_mode_32 0
		.amdhsa_float_round_mode_16_64 0
		.amdhsa_float_denorm_mode_32 3
		.amdhsa_float_denorm_mode_16_64 3
		.amdhsa_fp16_overflow 0
		.amdhsa_memory_ordered 1
		.amdhsa_forward_progress 1
		.amdhsa_inst_pref_size 29
		.amdhsa_round_robin_scheduling 0
		.amdhsa_exception_fp_ieee_invalid_op 0
		.amdhsa_exception_fp_denorm_src 0
		.amdhsa_exception_fp_ieee_div_zero 0
		.amdhsa_exception_fp_ieee_overflow 0
		.amdhsa_exception_fp_ieee_underflow 0
		.amdhsa_exception_fp_ieee_inexact 0
		.amdhsa_exception_int_div_zero 0
	.end_amdhsa_kernel
	.section	.text._ZL26flash_attn_combine_resultsILi80EEvPKfPK15HIP_vector_typeIfLj2EEPfi,"axG",@progbits,_ZL26flash_attn_combine_resultsILi80EEvPKfPK15HIP_vector_typeIfLj2EEPfi,comdat
.Lfunc_end13:
	.size	_ZL26flash_attn_combine_resultsILi80EEvPKfPK15HIP_vector_typeIfLj2EEPfi, .Lfunc_end13-_ZL26flash_attn_combine_resultsILi80EEvPKfPK15HIP_vector_typeIfLj2EEPfi
                                        ; -- End function
	.set _ZL26flash_attn_combine_resultsILi80EEvPKfPK15HIP_vector_typeIfLj2EEPfi.num_vgpr, 36
	.set _ZL26flash_attn_combine_resultsILi80EEvPKfPK15HIP_vector_typeIfLj2EEPfi.num_agpr, 0
	.set _ZL26flash_attn_combine_resultsILi80EEvPKfPK15HIP_vector_typeIfLj2EEPfi.numbered_sgpr, 47
	.set _ZL26flash_attn_combine_resultsILi80EEvPKfPK15HIP_vector_typeIfLj2EEPfi.num_named_barrier, 0
	.set _ZL26flash_attn_combine_resultsILi80EEvPKfPK15HIP_vector_typeIfLj2EEPfi.private_seg_size, 0
	.set _ZL26flash_attn_combine_resultsILi80EEvPKfPK15HIP_vector_typeIfLj2EEPfi.uses_vcc, 1
	.set _ZL26flash_attn_combine_resultsILi80EEvPKfPK15HIP_vector_typeIfLj2EEPfi.uses_flat_scratch, 0
	.set _ZL26flash_attn_combine_resultsILi80EEvPKfPK15HIP_vector_typeIfLj2EEPfi.has_dyn_sized_stack, 0
	.set _ZL26flash_attn_combine_resultsILi80EEvPKfPK15HIP_vector_typeIfLj2EEPfi.has_recursion, 0
	.set _ZL26flash_attn_combine_resultsILi80EEvPKfPK15HIP_vector_typeIfLj2EEPfi.has_indirect_call, 0
	.section	.AMDGPU.csdata,"",@progbits
; Kernel info:
; codeLenInByte = 3700
; TotalNumSgprs: 49
; NumVgprs: 36
; ScratchSize: 0
; MemoryBound: 0
; FloatMode: 240
; IeeeMode: 1
; LDSByteSize: 0 bytes/workgroup (compile time only)
; SGPRBlocks: 0
; VGPRBlocks: 2
; NumSGPRsForWavesPerEU: 49
; NumVGPRsForWavesPerEU: 36
; NamedBarCnt: 0
; Occupancy: 16
; WaveLimiterHint : 0
; COMPUTE_PGM_RSRC2:SCRATCH_EN: 0
; COMPUTE_PGM_RSRC2:USER_SGPR: 2
; COMPUTE_PGM_RSRC2:TRAP_HANDLER: 0
; COMPUTE_PGM_RSRC2:TGID_X_EN: 1
; COMPUTE_PGM_RSRC2:TGID_Y_EN: 1
; COMPUTE_PGM_RSRC2:TGID_Z_EN: 1
; COMPUTE_PGM_RSRC2:TIDIG_COMP_CNT: 0
	.section	.text._ZL18flash_attn_ext_f16ILi96ELi96ELi32ELi1ELb0ELb0EEvPKcS1_S1_S1_S1_PKiPfP15HIP_vector_typeIfLj2EEffffjfiS5_IjLj3EEiiiiiiiiiiiliiliiiiil,"axG",@progbits,_ZL18flash_attn_ext_f16ILi96ELi96ELi32ELi1ELb0ELb0EEvPKcS1_S1_S1_S1_PKiPfP15HIP_vector_typeIfLj2EEffffjfiS5_IjLj3EEiiiiiiiiiiiliiliiiiil,comdat
	.globl	_ZL18flash_attn_ext_f16ILi96ELi96ELi32ELi1ELb0ELb0EEvPKcS1_S1_S1_S1_PKiPfP15HIP_vector_typeIfLj2EEffffjfiS5_IjLj3EEiiiiiiiiiiiliiliiiiil ; -- Begin function _ZL18flash_attn_ext_f16ILi96ELi96ELi32ELi1ELb0ELb0EEvPKcS1_S1_S1_S1_PKiPfP15HIP_vector_typeIfLj2EEffffjfiS5_IjLj3EEiiiiiiiiiiiliiliiiiil
	.p2align	8
	.type	_ZL18flash_attn_ext_f16ILi96ELi96ELi32ELi1ELb0ELb0EEvPKcS1_S1_S1_S1_PKiPfP15HIP_vector_typeIfLj2EEffffjfiS5_IjLj3EEiiiiiiiiiiiliiliiiiil,@function
_ZL18flash_attn_ext_f16ILi96ELi96ELi32ELi1ELb0ELb0EEvPKcS1_S1_S1_S1_PKiPfP15HIP_vector_typeIfLj2EEffffjfiS5_IjLj3EEiiiiiiiiiiiliiliiiiil: ; @_ZL18flash_attn_ext_f16ILi96ELi96ELi32ELi1ELb0ELb0EEvPKcS1_S1_S1_S1_PKiPfP15HIP_vector_typeIfLj2EEffffjfiS5_IjLj3EEiiiiiiiiiiiliiliiiiil
; %bb.0:
	v_mov_b32_e32 v0, 0x6e3
	s_add_nc_u64 s[8:9], s[0:1], 0xd0
	s_get_pc_i64 s[0:1]
	s_add_nc_u64 s[0:1], s[0:1], _ZL14no_device_codePKciS0_iS0_@rel64+4
	s_mov_b32 s32, 0
	s_swap_pc_i64 s[30:31], s[0:1]
	.section	.rodata,"a",@progbits
	.p2align	6, 0x0
	.amdhsa_kernel _ZL18flash_attn_ext_f16ILi96ELi96ELi32ELi1ELb0ELb0EEvPKcS1_S1_S1_S1_PKiPfP15HIP_vector_typeIfLj2EEffffjfiS5_IjLj3EEiiiiiiiiiiiliiliiiiil
		.amdhsa_group_segment_fixed_size 0
		.amdhsa_private_segment_fixed_size 16
		.amdhsa_kernarg_size 464
		.amdhsa_user_sgpr_count 2
		.amdhsa_user_sgpr_dispatch_ptr 0
		.amdhsa_user_sgpr_queue_ptr 0
		.amdhsa_user_sgpr_kernarg_segment_ptr 1
		.amdhsa_user_sgpr_dispatch_id 0
		.amdhsa_user_sgpr_kernarg_preload_length 0
		.amdhsa_user_sgpr_kernarg_preload_offset 0
		.amdhsa_user_sgpr_private_segment_size 0
		.amdhsa_wavefront_size32 1
		.amdhsa_uses_dynamic_stack 0
		.amdhsa_enable_private_segment 1
		.amdhsa_system_sgpr_workgroup_id_x 1
		.amdhsa_system_sgpr_workgroup_id_y 0
		.amdhsa_system_sgpr_workgroup_id_z 0
		.amdhsa_system_sgpr_workgroup_info 0
		.amdhsa_system_vgpr_workitem_id 0
		.amdhsa_next_free_vgpr 50
		.amdhsa_next_free_sgpr 34
		.amdhsa_named_barrier_count 0
		.amdhsa_reserve_vcc 1
		.amdhsa_float_round_mode_32 0
		.amdhsa_float_round_mode_16_64 0
		.amdhsa_float_denorm_mode_32 3
		.amdhsa_float_denorm_mode_16_64 3
		.amdhsa_fp16_overflow 0
		.amdhsa_memory_ordered 1
		.amdhsa_forward_progress 1
		.amdhsa_inst_pref_size 1
		.amdhsa_round_robin_scheduling 0
		.amdhsa_exception_fp_ieee_invalid_op 0
		.amdhsa_exception_fp_denorm_src 0
		.amdhsa_exception_fp_ieee_div_zero 0
		.amdhsa_exception_fp_ieee_overflow 0
		.amdhsa_exception_fp_ieee_underflow 0
		.amdhsa_exception_fp_ieee_inexact 0
		.amdhsa_exception_int_div_zero 0
	.end_amdhsa_kernel
	.section	.text._ZL18flash_attn_ext_f16ILi96ELi96ELi32ELi1ELb0ELb0EEvPKcS1_S1_S1_S1_PKiPfP15HIP_vector_typeIfLj2EEffffjfiS5_IjLj3EEiiiiiiiiiiiliiliiiiil,"axG",@progbits,_ZL18flash_attn_ext_f16ILi96ELi96ELi32ELi1ELb0ELb0EEvPKcS1_S1_S1_S1_PKiPfP15HIP_vector_typeIfLj2EEffffjfiS5_IjLj3EEiiiiiiiiiiiliiliiiiil,comdat
.Lfunc_end14:
	.size	_ZL18flash_attn_ext_f16ILi96ELi96ELi32ELi1ELb0ELb0EEvPKcS1_S1_S1_S1_PKiPfP15HIP_vector_typeIfLj2EEffffjfiS5_IjLj3EEiiiiiiiiiiiliiliiiiil, .Lfunc_end14-_ZL18flash_attn_ext_f16ILi96ELi96ELi32ELi1ELb0ELb0EEvPKcS1_S1_S1_S1_PKiPfP15HIP_vector_typeIfLj2EEffffjfiS5_IjLj3EEiiiiiiiiiiiliiliiiiil
                                        ; -- End function
	.set _ZL18flash_attn_ext_f16ILi96ELi96ELi32ELi1ELb0ELb0EEvPKcS1_S1_S1_S1_PKiPfP15HIP_vector_typeIfLj2EEffffjfiS5_IjLj3EEiiiiiiiiiiiliiliiiiil.num_vgpr, max(1, .L_ZL14no_device_codePKciS0_iS0_.num_vgpr)
	.set _ZL18flash_attn_ext_f16ILi96ELi96ELi32ELi1ELb0ELb0EEvPKcS1_S1_S1_S1_PKiPfP15HIP_vector_typeIfLj2EEffffjfiS5_IjLj3EEiiiiiiiiiiiliiliiiiil.num_agpr, max(0, .L_ZL14no_device_codePKciS0_iS0_.num_agpr)
	.set _ZL18flash_attn_ext_f16ILi96ELi96ELi32ELi1ELb0ELb0EEvPKcS1_S1_S1_S1_PKiPfP15HIP_vector_typeIfLj2EEffffjfiS5_IjLj3EEiiiiiiiiiiiliiliiiiil.numbered_sgpr, max(33, .L_ZL14no_device_codePKciS0_iS0_.numbered_sgpr)
	.set _ZL18flash_attn_ext_f16ILi96ELi96ELi32ELi1ELb0ELb0EEvPKcS1_S1_S1_S1_PKiPfP15HIP_vector_typeIfLj2EEffffjfiS5_IjLj3EEiiiiiiiiiiiliiliiiiil.num_named_barrier, max(0, .L_ZL14no_device_codePKciS0_iS0_.num_named_barrier)
	.set _ZL18flash_attn_ext_f16ILi96ELi96ELi32ELi1ELb0ELb0EEvPKcS1_S1_S1_S1_PKiPfP15HIP_vector_typeIfLj2EEffffjfiS5_IjLj3EEiiiiiiiiiiiliiliiiiil.private_seg_size, 0+max(.L_ZL14no_device_codePKciS0_iS0_.private_seg_size)
	.set _ZL18flash_attn_ext_f16ILi96ELi96ELi32ELi1ELb0ELb0EEvPKcS1_S1_S1_S1_PKiPfP15HIP_vector_typeIfLj2EEffffjfiS5_IjLj3EEiiiiiiiiiiiliiliiiiil.uses_vcc, or(1, .L_ZL14no_device_codePKciS0_iS0_.uses_vcc)
	.set _ZL18flash_attn_ext_f16ILi96ELi96ELi32ELi1ELb0ELb0EEvPKcS1_S1_S1_S1_PKiPfP15HIP_vector_typeIfLj2EEffffjfiS5_IjLj3EEiiiiiiiiiiiliiliiiiil.uses_flat_scratch, or(0, .L_ZL14no_device_codePKciS0_iS0_.uses_flat_scratch)
	.set _ZL18flash_attn_ext_f16ILi96ELi96ELi32ELi1ELb0ELb0EEvPKcS1_S1_S1_S1_PKiPfP15HIP_vector_typeIfLj2EEffffjfiS5_IjLj3EEiiiiiiiiiiiliiliiiiil.has_dyn_sized_stack, or(0, .L_ZL14no_device_codePKciS0_iS0_.has_dyn_sized_stack)
	.set _ZL18flash_attn_ext_f16ILi96ELi96ELi32ELi1ELb0ELb0EEvPKcS1_S1_S1_S1_PKiPfP15HIP_vector_typeIfLj2EEffffjfiS5_IjLj3EEiiiiiiiiiiiliiliiiiil.has_recursion, or(0, .L_ZL14no_device_codePKciS0_iS0_.has_recursion)
	.set _ZL18flash_attn_ext_f16ILi96ELi96ELi32ELi1ELb0ELb0EEvPKcS1_S1_S1_S1_PKiPfP15HIP_vector_typeIfLj2EEffffjfiS5_IjLj3EEiiiiiiiiiiiliiliiiiil.has_indirect_call, or(0, .L_ZL14no_device_codePKciS0_iS0_.has_indirect_call)
	.section	.AMDGPU.csdata,"",@progbits
; Kernel info:
; codeLenInByte = 40
; TotalNumSgprs: 36
; NumVgprs: 50
; ScratchSize: 16
; MemoryBound: 0
; FloatMode: 240
; IeeeMode: 1
; LDSByteSize: 0 bytes/workgroup (compile time only)
; SGPRBlocks: 0
; VGPRBlocks: 3
; NumSGPRsForWavesPerEU: 36
; NumVGPRsForWavesPerEU: 50
; NamedBarCnt: 0
; Occupancy: 16
; WaveLimiterHint : 1
; COMPUTE_PGM_RSRC2:SCRATCH_EN: 1
; COMPUTE_PGM_RSRC2:USER_SGPR: 2
; COMPUTE_PGM_RSRC2:TRAP_HANDLER: 0
; COMPUTE_PGM_RSRC2:TGID_X_EN: 1
; COMPUTE_PGM_RSRC2:TGID_Y_EN: 0
; COMPUTE_PGM_RSRC2:TGID_Z_EN: 0
; COMPUTE_PGM_RSRC2:TIDIG_COMP_CNT: 0
	.section	.text._ZL18flash_attn_ext_f16ILi96ELi96ELi32ELi1ELb1ELb0EEvPKcS1_S1_S1_S1_PKiPfP15HIP_vector_typeIfLj2EEffffjfiS5_IjLj3EEiiiiiiiiiiiliiliiiiil,"axG",@progbits,_ZL18flash_attn_ext_f16ILi96ELi96ELi32ELi1ELb1ELb0EEvPKcS1_S1_S1_S1_PKiPfP15HIP_vector_typeIfLj2EEffffjfiS5_IjLj3EEiiiiiiiiiiiliiliiiiil,comdat
	.globl	_ZL18flash_attn_ext_f16ILi96ELi96ELi32ELi1ELb1ELb0EEvPKcS1_S1_S1_S1_PKiPfP15HIP_vector_typeIfLj2EEffffjfiS5_IjLj3EEiiiiiiiiiiiliiliiiiil ; -- Begin function _ZL18flash_attn_ext_f16ILi96ELi96ELi32ELi1ELb1ELb0EEvPKcS1_S1_S1_S1_PKiPfP15HIP_vector_typeIfLj2EEffffjfiS5_IjLj3EEiiiiiiiiiiiliiliiiiil
	.p2align	8
	.type	_ZL18flash_attn_ext_f16ILi96ELi96ELi32ELi1ELb1ELb0EEvPKcS1_S1_S1_S1_PKiPfP15HIP_vector_typeIfLj2EEffffjfiS5_IjLj3EEiiiiiiiiiiiliiliiiiil,@function
_ZL18flash_attn_ext_f16ILi96ELi96ELi32ELi1ELb1ELb0EEvPKcS1_S1_S1_S1_PKiPfP15HIP_vector_typeIfLj2EEffffjfiS5_IjLj3EEiiiiiiiiiiiliiliiiiil: ; @_ZL18flash_attn_ext_f16ILi96ELi96ELi32ELi1ELb1ELb0EEvPKcS1_S1_S1_S1_PKiPfP15HIP_vector_typeIfLj2EEffffjfiS5_IjLj3EEiiiiiiiiiiiliiliiiiil
; %bb.0:
	v_mov_b32_e32 v0, 0x6cc
	s_add_nc_u64 s[8:9], s[0:1], 0xd0
	s_get_pc_i64 s[0:1]
	s_add_nc_u64 s[0:1], s[0:1], _ZL14no_device_codePKciS0_iS0_@rel64+4
	s_mov_b32 s32, 0
	s_swap_pc_i64 s[30:31], s[0:1]
	.section	.rodata,"a",@progbits
	.p2align	6, 0x0
	.amdhsa_kernel _ZL18flash_attn_ext_f16ILi96ELi96ELi32ELi1ELb1ELb0EEvPKcS1_S1_S1_S1_PKiPfP15HIP_vector_typeIfLj2EEffffjfiS5_IjLj3EEiiiiiiiiiiiliiliiiiil
		.amdhsa_group_segment_fixed_size 0
		.amdhsa_private_segment_fixed_size 16
		.amdhsa_kernarg_size 464
		.amdhsa_user_sgpr_count 2
		.amdhsa_user_sgpr_dispatch_ptr 0
		.amdhsa_user_sgpr_queue_ptr 0
		.amdhsa_user_sgpr_kernarg_segment_ptr 1
		.amdhsa_user_sgpr_dispatch_id 0
		.amdhsa_user_sgpr_kernarg_preload_length 0
		.amdhsa_user_sgpr_kernarg_preload_offset 0
		.amdhsa_user_sgpr_private_segment_size 0
		.amdhsa_wavefront_size32 1
		.amdhsa_uses_dynamic_stack 0
		.amdhsa_enable_private_segment 1
		.amdhsa_system_sgpr_workgroup_id_x 1
		.amdhsa_system_sgpr_workgroup_id_y 0
		.amdhsa_system_sgpr_workgroup_id_z 0
		.amdhsa_system_sgpr_workgroup_info 0
		.amdhsa_system_vgpr_workitem_id 0
		.amdhsa_next_free_vgpr 50
		.amdhsa_next_free_sgpr 34
		.amdhsa_named_barrier_count 0
		.amdhsa_reserve_vcc 1
		.amdhsa_float_round_mode_32 0
		.amdhsa_float_round_mode_16_64 0
		.amdhsa_float_denorm_mode_32 3
		.amdhsa_float_denorm_mode_16_64 3
		.amdhsa_fp16_overflow 0
		.amdhsa_memory_ordered 1
		.amdhsa_forward_progress 1
		.amdhsa_inst_pref_size 1
		.amdhsa_round_robin_scheduling 0
		.amdhsa_exception_fp_ieee_invalid_op 0
		.amdhsa_exception_fp_denorm_src 0
		.amdhsa_exception_fp_ieee_div_zero 0
		.amdhsa_exception_fp_ieee_overflow 0
		.amdhsa_exception_fp_ieee_underflow 0
		.amdhsa_exception_fp_ieee_inexact 0
		.amdhsa_exception_int_div_zero 0
	.end_amdhsa_kernel
	.section	.text._ZL18flash_attn_ext_f16ILi96ELi96ELi32ELi1ELb1ELb0EEvPKcS1_S1_S1_S1_PKiPfP15HIP_vector_typeIfLj2EEffffjfiS5_IjLj3EEiiiiiiiiiiiliiliiiiil,"axG",@progbits,_ZL18flash_attn_ext_f16ILi96ELi96ELi32ELi1ELb1ELb0EEvPKcS1_S1_S1_S1_PKiPfP15HIP_vector_typeIfLj2EEffffjfiS5_IjLj3EEiiiiiiiiiiiliiliiiiil,comdat
.Lfunc_end15:
	.size	_ZL18flash_attn_ext_f16ILi96ELi96ELi32ELi1ELb1ELb0EEvPKcS1_S1_S1_S1_PKiPfP15HIP_vector_typeIfLj2EEffffjfiS5_IjLj3EEiiiiiiiiiiiliiliiiiil, .Lfunc_end15-_ZL18flash_attn_ext_f16ILi96ELi96ELi32ELi1ELb1ELb0EEvPKcS1_S1_S1_S1_PKiPfP15HIP_vector_typeIfLj2EEffffjfiS5_IjLj3EEiiiiiiiiiiiliiliiiiil
                                        ; -- End function
	.set _ZL18flash_attn_ext_f16ILi96ELi96ELi32ELi1ELb1ELb0EEvPKcS1_S1_S1_S1_PKiPfP15HIP_vector_typeIfLj2EEffffjfiS5_IjLj3EEiiiiiiiiiiiliiliiiiil.num_vgpr, max(1, .L_ZL14no_device_codePKciS0_iS0_.num_vgpr)
	.set _ZL18flash_attn_ext_f16ILi96ELi96ELi32ELi1ELb1ELb0EEvPKcS1_S1_S1_S1_PKiPfP15HIP_vector_typeIfLj2EEffffjfiS5_IjLj3EEiiiiiiiiiiiliiliiiiil.num_agpr, max(0, .L_ZL14no_device_codePKciS0_iS0_.num_agpr)
	.set _ZL18flash_attn_ext_f16ILi96ELi96ELi32ELi1ELb1ELb0EEvPKcS1_S1_S1_S1_PKiPfP15HIP_vector_typeIfLj2EEffffjfiS5_IjLj3EEiiiiiiiiiiiliiliiiiil.numbered_sgpr, max(33, .L_ZL14no_device_codePKciS0_iS0_.numbered_sgpr)
	.set _ZL18flash_attn_ext_f16ILi96ELi96ELi32ELi1ELb1ELb0EEvPKcS1_S1_S1_S1_PKiPfP15HIP_vector_typeIfLj2EEffffjfiS5_IjLj3EEiiiiiiiiiiiliiliiiiil.num_named_barrier, max(0, .L_ZL14no_device_codePKciS0_iS0_.num_named_barrier)
	.set _ZL18flash_attn_ext_f16ILi96ELi96ELi32ELi1ELb1ELb0EEvPKcS1_S1_S1_S1_PKiPfP15HIP_vector_typeIfLj2EEffffjfiS5_IjLj3EEiiiiiiiiiiiliiliiiiil.private_seg_size, 0+max(.L_ZL14no_device_codePKciS0_iS0_.private_seg_size)
	.set _ZL18flash_attn_ext_f16ILi96ELi96ELi32ELi1ELb1ELb0EEvPKcS1_S1_S1_S1_PKiPfP15HIP_vector_typeIfLj2EEffffjfiS5_IjLj3EEiiiiiiiiiiiliiliiiiil.uses_vcc, or(1, .L_ZL14no_device_codePKciS0_iS0_.uses_vcc)
	.set _ZL18flash_attn_ext_f16ILi96ELi96ELi32ELi1ELb1ELb0EEvPKcS1_S1_S1_S1_PKiPfP15HIP_vector_typeIfLj2EEffffjfiS5_IjLj3EEiiiiiiiiiiiliiliiiiil.uses_flat_scratch, or(0, .L_ZL14no_device_codePKciS0_iS0_.uses_flat_scratch)
	.set _ZL18flash_attn_ext_f16ILi96ELi96ELi32ELi1ELb1ELb0EEvPKcS1_S1_S1_S1_PKiPfP15HIP_vector_typeIfLj2EEffffjfiS5_IjLj3EEiiiiiiiiiiiliiliiiiil.has_dyn_sized_stack, or(0, .L_ZL14no_device_codePKciS0_iS0_.has_dyn_sized_stack)
	.set _ZL18flash_attn_ext_f16ILi96ELi96ELi32ELi1ELb1ELb0EEvPKcS1_S1_S1_S1_PKiPfP15HIP_vector_typeIfLj2EEffffjfiS5_IjLj3EEiiiiiiiiiiiliiliiiiil.has_recursion, or(0, .L_ZL14no_device_codePKciS0_iS0_.has_recursion)
	.set _ZL18flash_attn_ext_f16ILi96ELi96ELi32ELi1ELb1ELb0EEvPKcS1_S1_S1_S1_PKiPfP15HIP_vector_typeIfLj2EEffffjfiS5_IjLj3EEiiiiiiiiiiiliiliiiiil.has_indirect_call, or(0, .L_ZL14no_device_codePKciS0_iS0_.has_indirect_call)
	.section	.AMDGPU.csdata,"",@progbits
; Kernel info:
; codeLenInByte = 40
; TotalNumSgprs: 36
; NumVgprs: 50
; ScratchSize: 16
; MemoryBound: 0
; FloatMode: 240
; IeeeMode: 1
; LDSByteSize: 0 bytes/workgroup (compile time only)
; SGPRBlocks: 0
; VGPRBlocks: 3
; NumSGPRsForWavesPerEU: 36
; NumVGPRsForWavesPerEU: 50
; NamedBarCnt: 0
; Occupancy: 16
; WaveLimiterHint : 1
; COMPUTE_PGM_RSRC2:SCRATCH_EN: 1
; COMPUTE_PGM_RSRC2:USER_SGPR: 2
; COMPUTE_PGM_RSRC2:TRAP_HANDLER: 0
; COMPUTE_PGM_RSRC2:TGID_X_EN: 1
; COMPUTE_PGM_RSRC2:TGID_Y_EN: 0
; COMPUTE_PGM_RSRC2:TGID_Z_EN: 0
; COMPUTE_PGM_RSRC2:TIDIG_COMP_CNT: 0
	.section	.text._ZL33flash_attn_stream_k_fixup_uniformILi96ELi32ELi1EEvPfPK15HIP_vector_typeIfLj2EEiiiiiiS1_IjLj3EES5_S5_,"axG",@progbits,_ZL33flash_attn_stream_k_fixup_uniformILi96ELi32ELi1EEvPfPK15HIP_vector_typeIfLj2EEiiiiiiS1_IjLj3EES5_S5_,comdat
	.globl	_ZL33flash_attn_stream_k_fixup_uniformILi96ELi32ELi1EEvPfPK15HIP_vector_typeIfLj2EEiiiiiiS1_IjLj3EES5_S5_ ; -- Begin function _ZL33flash_attn_stream_k_fixup_uniformILi96ELi32ELi1EEvPfPK15HIP_vector_typeIfLj2EEiiiiiiS1_IjLj3EES5_S5_
	.p2align	8
	.type	_ZL33flash_attn_stream_k_fixup_uniformILi96ELi32ELi1EEvPfPK15HIP_vector_typeIfLj2EEiiiiiiS1_IjLj3EES5_S5_,@function
_ZL33flash_attn_stream_k_fixup_uniformILi96ELi32ELi1EEvPfPK15HIP_vector_typeIfLj2EEiiiiiiS1_IjLj3EES5_S5_: ; @_ZL33flash_attn_stream_k_fixup_uniformILi96ELi32ELi1EEvPfPK15HIP_vector_typeIfLj2EEiiiiiiS1_IjLj3EES5_S5_
; %bb.0:
	s_load_b256 s[4:11], s[0:1], 0x1c
	s_bfe_u32 s2, ttmp6, 0x40014
	s_lshr_b32 s3, ttmp7, 16
	s_add_co_i32 s2, s2, 1
	s_bfe_u32 s13, ttmp6, 0x40010
	s_mul_i32 s2, s3, s2
	s_bfe_u32 s12, ttmp6, 0x40008
	s_and_b32 s14, ttmp7, 0xffff
	s_add_co_i32 s13, s13, 1
	s_bfe_u32 s15, ttmp6, 0x4000c
	s_add_co_i32 s2, s12, s2
	s_mul_i32 s12, s14, s13
	s_bfe_u32 s13, ttmp6, 0x40004
	s_add_co_i32 s15, s15, 1
	s_add_co_i32 s13, s13, s12
	s_and_b32 s12, ttmp6, 15
	s_mul_i32 s15, ttmp9, s15
	s_getreg_b32 s20, hwreg(HW_REG_IB_STS2, 6, 4)
	s_add_co_i32 s12, s12, s15
	s_load_b128 s[16:19], s[0:1], 0x3c
	s_cmp_eq_u32 s20, 0
	s_cselect_b32 s12, ttmp9, s12
	s_cselect_b32 s13, s14, s13
	s_wait_kmcnt 0x0
	s_mul_hi_u32 s7, s7, s12
	s_cselect_b32 s14, s3, s2
	s_add_co_i32 s2, s12, s7
	s_delay_alu instid0(SALU_CYCLE_1) | instskip(NEXT) | instid1(SALU_CYCLE_1)
	s_lshr_b32 s7, s2, s8
	s_mul_i32 s2, s7, s9
	s_delay_alu instid0(SALU_CYCLE_1) | instskip(NEXT) | instid1(SALU_CYCLE_1)
	s_sub_co_i32 s8, s12, s2
	s_mul_hi_u32 s2, s8, s10
	s_delay_alu instid0(SALU_CYCLE_1) | instskip(SKIP_2) | instid1(SALU_CYCLE_1)
	s_add_co_i32 s9, s8, s2
	s_load_b64 s[2:3], s[0:1], 0x10
	s_lshr_b32 s15, s9, s11
	s_mul_i32 s9, s15, s16
	s_delay_alu instid0(SALU_CYCLE_1) | instskip(NEXT) | instid1(SALU_CYCLE_1)
	s_sub_co_i32 s8, s8, s9
	s_mul_hi_u32 s9, s8, s17
	s_delay_alu instid0(SALU_CYCLE_1) | instskip(NEXT) | instid1(SALU_CYCLE_1)
	s_add_co_i32 s9, s8, s9
	s_lshr_b32 s16, s9, s18
	s_delay_alu instid0(SALU_CYCLE_1) | instskip(NEXT) | instid1(SALU_CYCLE_1)
	s_mul_i32 s9, s16, s19
	s_sub_co_i32 s17, s8, s9
	s_delay_alu instid0(SALU_CYCLE_1) | instskip(NEXT) | instid1(SALU_CYCLE_1)
	s_lshl_b32 s8, s17, 5
	s_add_co_i32 s8, s8, s13
	s_wait_kmcnt 0x0
	s_cmp_lt_i32 s8, s2
	s_cselect_b32 s8, -1, 0
	s_add_co_i32 s16, s16, s14
	s_delay_alu instid0(SALU_CYCLE_1) | instskip(SKIP_1) | instid1(SALU_CYCLE_1)
	s_cmp_lt_i32 s16, s5
	s_cselect_b32 s9, -1, 0
	s_and_b32 s8, s8, s9
	s_delay_alu instid0(SALU_CYCLE_1)
	s_and_not1_b32 vcc_lo, exec_lo, s8
	s_cbranch_vccnz .LBB16_6
; %bb.1:
	s_load_b128 s[8:11], s[0:1], 0x0
	s_wait_xcnt 0x0
	s_mul_i32 s1, s3, s17
	s_mul_i32 s0, s7, s2
	s_mulk_i32 s1, 0xc00
	s_mul_i32 s15, s15, s5
	s_add_co_i32 s0, s0, s13
	v_or_b32_e32 v1, s1, v0
	s_mul_i32 s0, s0, s3
	s_add_co_i32 s1, s16, s15
	s_mul_i32 s7, s6, s12
	s_add_co_i32 s1, s1, s0
	s_add_co_i32 s5, s7, s6
	v_mad_u32 v4, 0x60, s1, v1
	s_add_co_i32 s13, s13, s14
	s_lshl_b32 s0, s5, 5
	s_add_co_i32 s2, s5, -2
	s_add_co_i32 s0, s13, s0
	s_delay_alu instid0(SALU_CYCLE_1) | instskip(NEXT) | instid1(SALU_CYCLE_1)
	s_sub_co_i32 s0, s0, 32
	s_ashr_i32 s1, s0, 31
	s_delay_alu instid0(SALU_CYCLE_1)
	s_lshl_b64 s[0:1], s[0:1], 3
	s_wait_kmcnt 0x0
	global_load_b32 v3, v4, s[8:9] scale_offset
	s_add_nc_u64 s[0:1], s[10:11], s[0:1]
	v_ashrrev_i32_e32 v5, 31, v4
	s_load_b32 s14, s[0:1], 0x4
	s_cmp_lt_i32 s2, s7
	s_cbranch_scc1 .LBB16_4
; %bb.2:
	s_wait_xcnt 0x0
	s_load_b32 s0, s[0:1], 0x0
	s_add_co_i32 s12, s12, 1
	s_lshl_b32 s2, s4, 7
	s_wait_xcnt 0x0
	s_mul_i32 s1, s6, s12
	s_mul_i32 s6, s13, 0x60
	s_lshl_b32 s12, s1, 5
	s_mulk_i32 s1, 0xc00
	s_ashr_i32 s3, s2, 31
	s_add_co_i32 s6, s6, s1
	s_add_co_i32 s12, s13, s12
	s_lshl_b32 s1, s4, 5
	v_add3_u32 v0, s6, v0, 0xffffe800
	s_wait_kmcnt 0x0
	v_mov_b32_e32 v2, s14
	s_lshl_b64 s[2:3], s[2:3], 2
	s_add_co_i32 s12, s12, s1
	s_add_nc_u64 s[2:3], s[10:11], s[2:3]
	s_add_co_i32 s1, s5, -1
	s_sub_co_i32 s4, s12, 64
.LBB16_3:                               ; =>This Inner Loop Header: Depth=1
	global_load_b32 v7, v0, s[2:3] scale_offset
	s_ashr_i32 s5, s4, 31
	v_max_num_f32_e64 v1, s0, s0
	s_lshl_b64 s[12:13], s[4:5], 3
	s_delay_alu instid0(SALU_CYCLE_1) | instskip(SKIP_1) | instid1(VALU_DEP_1)
	s_add_nc_u64 s[12:13], s[10:11], s[12:13]
	s_load_b64 s[12:13], s[12:13], 0x0
	v_readfirstlane_b32 s5, v1
	v_add_nc_u32_e32 v0, 0xfffff400, v0
	s_wait_kmcnt 0x0
	v_max_num_f32_e64 v1, s12, s12
	s_delay_alu instid0(VALU_DEP_1) | instskip(SKIP_1) | instid1(SALU_CYCLE_3)
	v_readfirstlane_b32 s6, v1
	s_max_num_f32 s5, s5, s6
	s_sub_f32 s0, s0, s5
	s_sub_f32 s6, s12, s5
	s_delay_alu instid0(SALU_CYCLE_2) | instskip(NEXT) | instid1(SALU_CYCLE_2)
	s_mul_f32 s12, s0, 0x3fb8aa3b
	s_mul_f32 s14, s6, 0x3fb8aa3b
	s_delay_alu instid0(SALU_CYCLE_2)
	s_xor_b32 s15, s12, 0x80000000
	s_rndne_f32 s16, s12
	s_fmamk_f32 s15, s0, 0x3fb8aa3b, s15
	s_cmp_nlt_f32 s0, 0xc2ce8ed0
	s_rndne_f32 s17, s14
	s_sub_f32 s12, s12, s16
	s_fmamk_f32 s15, s0, 0x32a5705f, s15
	s_cselect_b32 vcc_lo, -1, 0
	s_cmp_ngt_f32 s0, 0x42b17218
	s_delay_alu instid0(SALU_CYCLE_1) | instskip(SKIP_2) | instid1(SALU_CYCLE_1)
	s_add_f32 s12, s12, s15
	s_cvt_i32_f32 s15, s16
	s_sub_f32 s16, s14, s17
	v_s_exp_f32 s12, s12
	v_nop
	s_delay_alu instid0(TRANS32_DEP_1) | instskip(SKIP_1) | instid1(VALU_DEP_1)
	v_ldexp_f32 v1, s12, s15
	s_cvt_i32_f32 s12, s17
	v_cndmask_b32_e32 v1, 0, v1, vcc_lo
	s_cselect_b32 vcc_lo, -1, 0
	s_cmp_ge_f32 s0, 0xc1a00000
	s_delay_alu instid0(VALU_DEP_1)
	v_cndmask_b32_e32 v1, 0x7f800000, v1, vcc_lo
	s_cselect_b32 vcc_lo, -1, 0
	s_xor_b32 s0, s14, 0x80000000
	s_cmp_nlt_f32 s6, 0xc2ce8ed0
	s_fmamk_f32 s0, s6, 0x3fb8aa3b, s0
	v_cndmask_b32_e32 v10, 0, v1, vcc_lo
	s_delay_alu instid0(SALU_CYCLE_2) | instskip(NEXT) | instid1(SALU_CYCLE_3)
	s_fmamk_f32 s0, s6, 0x32a5705f, s0
	s_add_f32 s0, s16, s0
	s_delay_alu instid0(SALU_CYCLE_3) | instskip(SKIP_1) | instid1(TRANS32_DEP_1)
	v_s_exp_f32 s0, s0
	v_nop
	v_ldexp_f32 v6, s0, s12
	s_cselect_b32 s0, -1, 0
	s_cmp_ngt_f32 s6, 0x42b17218
	s_delay_alu instid0(VALU_DEP_1) | instskip(SKIP_2) | instid1(VALU_DEP_1)
	v_cndmask_b32_e64 v6, 0, v6, s0
	s_cselect_b32 s0, -1, 0
	s_cmp_ge_f32 s6, 0xc1a00000
	v_cndmask_b32_e64 v8, 0x7f800000, v6, s0
	s_cselect_b32 s0, -1, 0
	v_mov_b32_e32 v6, s13
	s_add_co_i32 s1, s1, -1
	s_sub_co_i32 s4, s4, 32
	v_cndmask_b32_e64 v8, 0, v8, s0
	s_cmp_le_i32 s1, s7
	s_mov_b32 s0, s5
	s_wait_loadcnt 0x0
	s_delay_alu instid0(VALU_DEP_1) | instskip(NEXT) | instid1(VALU_DEP_1)
	v_pk_mul_f32 v[6:7], v[6:7], v[8:9] op_sel_hi:[1,0]
	v_pk_fma_f32 v[2:3], v[2:3], v[10:11], v[6:7] op_sel_hi:[1,0,1]
	s_cbranch_scc0 .LBB16_3
	s_branch .LBB16_5
.LBB16_4:
	s_wait_kmcnt 0x0
	v_mov_b32_e32 v2, s14
.LBB16_5:
	v_lshl_add_u64 v[0:1], v[4:5], 2, s[8:9]
	s_wait_loadcnt 0x0
	s_delay_alu instid0(VALU_DEP_2) | instskip(NEXT) | instid1(VALU_DEP_1)
	v_div_scale_f32 v4, null, v2, v2, v3
	v_rcp_f32_e32 v5, v4
	v_nop
	s_delay_alu instid0(TRANS32_DEP_1) | instskip(NEXT) | instid1(VALU_DEP_1)
	v_fma_f32 v6, -v4, v5, 1.0
	v_fmac_f32_e32 v5, v6, v5
	v_div_scale_f32 v6, vcc_lo, v3, v2, v3
	s_delay_alu instid0(VALU_DEP_1) | instskip(NEXT) | instid1(VALU_DEP_1)
	v_mul_f32_e32 v7, v6, v5
	v_fma_f32 v8, -v4, v7, v6
	s_delay_alu instid0(VALU_DEP_1) | instskip(NEXT) | instid1(VALU_DEP_1)
	v_fmac_f32_e32 v7, v8, v5
	v_fma_f32 v4, -v4, v7, v6
	s_delay_alu instid0(VALU_DEP_1) | instskip(NEXT) | instid1(VALU_DEP_1)
	v_div_fmas_f32 v4, v4, v5, v7
	v_div_fixup_f32 v2, v4, v2, v3
	global_store_b32 v[0:1], v2, off
.LBB16_6:
	s_endpgm
	.section	.rodata,"a",@progbits
	.p2align	6, 0x0
	.amdhsa_kernel _ZL33flash_attn_stream_k_fixup_uniformILi96ELi32ELi1EEvPfPK15HIP_vector_typeIfLj2EEiiiiiiS1_IjLj3EES5_S5_
		.amdhsa_group_segment_fixed_size 0
		.amdhsa_private_segment_fixed_size 0
		.amdhsa_kernarg_size 76
		.amdhsa_user_sgpr_count 2
		.amdhsa_user_sgpr_dispatch_ptr 0
		.amdhsa_user_sgpr_queue_ptr 0
		.amdhsa_user_sgpr_kernarg_segment_ptr 1
		.amdhsa_user_sgpr_dispatch_id 0
		.amdhsa_user_sgpr_kernarg_preload_length 0
		.amdhsa_user_sgpr_kernarg_preload_offset 0
		.amdhsa_user_sgpr_private_segment_size 0
		.amdhsa_wavefront_size32 1
		.amdhsa_uses_dynamic_stack 0
		.amdhsa_enable_private_segment 0
		.amdhsa_system_sgpr_workgroup_id_x 1
		.amdhsa_system_sgpr_workgroup_id_y 1
		.amdhsa_system_sgpr_workgroup_id_z 1
		.amdhsa_system_sgpr_workgroup_info 0
		.amdhsa_system_vgpr_workitem_id 0
		.amdhsa_next_free_vgpr 12
		.amdhsa_next_free_sgpr 21
		.amdhsa_named_barrier_count 0
		.amdhsa_reserve_vcc 1
		.amdhsa_float_round_mode_32 0
		.amdhsa_float_round_mode_16_64 0
		.amdhsa_float_denorm_mode_32 3
		.amdhsa_float_denorm_mode_16_64 3
		.amdhsa_fp16_overflow 0
		.amdhsa_memory_ordered 1
		.amdhsa_forward_progress 1
		.amdhsa_inst_pref_size 9
		.amdhsa_round_robin_scheduling 0
		.amdhsa_exception_fp_ieee_invalid_op 0
		.amdhsa_exception_fp_denorm_src 0
		.amdhsa_exception_fp_ieee_div_zero 0
		.amdhsa_exception_fp_ieee_overflow 0
		.amdhsa_exception_fp_ieee_underflow 0
		.amdhsa_exception_fp_ieee_inexact 0
		.amdhsa_exception_int_div_zero 0
	.end_amdhsa_kernel
	.section	.text._ZL33flash_attn_stream_k_fixup_uniformILi96ELi32ELi1EEvPfPK15HIP_vector_typeIfLj2EEiiiiiiS1_IjLj3EES5_S5_,"axG",@progbits,_ZL33flash_attn_stream_k_fixup_uniformILi96ELi32ELi1EEvPfPK15HIP_vector_typeIfLj2EEiiiiiiS1_IjLj3EES5_S5_,comdat
.Lfunc_end16:
	.size	_ZL33flash_attn_stream_k_fixup_uniformILi96ELi32ELi1EEvPfPK15HIP_vector_typeIfLj2EEiiiiiiS1_IjLj3EES5_S5_, .Lfunc_end16-_ZL33flash_attn_stream_k_fixup_uniformILi96ELi32ELi1EEvPfPK15HIP_vector_typeIfLj2EEiiiiiiS1_IjLj3EES5_S5_
                                        ; -- End function
	.set _ZL33flash_attn_stream_k_fixup_uniformILi96ELi32ELi1EEvPfPK15HIP_vector_typeIfLj2EEiiiiiiS1_IjLj3EES5_S5_.num_vgpr, 12
	.set _ZL33flash_attn_stream_k_fixup_uniformILi96ELi32ELi1EEvPfPK15HIP_vector_typeIfLj2EEiiiiiiS1_IjLj3EES5_S5_.num_agpr, 0
	.set _ZL33flash_attn_stream_k_fixup_uniformILi96ELi32ELi1EEvPfPK15HIP_vector_typeIfLj2EEiiiiiiS1_IjLj3EES5_S5_.numbered_sgpr, 21
	.set _ZL33flash_attn_stream_k_fixup_uniformILi96ELi32ELi1EEvPfPK15HIP_vector_typeIfLj2EEiiiiiiS1_IjLj3EES5_S5_.num_named_barrier, 0
	.set _ZL33flash_attn_stream_k_fixup_uniformILi96ELi32ELi1EEvPfPK15HIP_vector_typeIfLj2EEiiiiiiS1_IjLj3EES5_S5_.private_seg_size, 0
	.set _ZL33flash_attn_stream_k_fixup_uniformILi96ELi32ELi1EEvPfPK15HIP_vector_typeIfLj2EEiiiiiiS1_IjLj3EES5_S5_.uses_vcc, 1
	.set _ZL33flash_attn_stream_k_fixup_uniformILi96ELi32ELi1EEvPfPK15HIP_vector_typeIfLj2EEiiiiiiS1_IjLj3EES5_S5_.uses_flat_scratch, 0
	.set _ZL33flash_attn_stream_k_fixup_uniformILi96ELi32ELi1EEvPfPK15HIP_vector_typeIfLj2EEiiiiiiS1_IjLj3EES5_S5_.has_dyn_sized_stack, 0
	.set _ZL33flash_attn_stream_k_fixup_uniformILi96ELi32ELi1EEvPfPK15HIP_vector_typeIfLj2EEiiiiiiS1_IjLj3EES5_S5_.has_recursion, 0
	.set _ZL33flash_attn_stream_k_fixup_uniformILi96ELi32ELi1EEvPfPK15HIP_vector_typeIfLj2EEiiiiiiS1_IjLj3EES5_S5_.has_indirect_call, 0
	.section	.AMDGPU.csdata,"",@progbits
; Kernel info:
; codeLenInByte = 1080
; TotalNumSgprs: 23
; NumVgprs: 12
; ScratchSize: 0
; MemoryBound: 0
; FloatMode: 240
; IeeeMode: 1
; LDSByteSize: 0 bytes/workgroup (compile time only)
; SGPRBlocks: 0
; VGPRBlocks: 0
; NumSGPRsForWavesPerEU: 23
; NumVGPRsForWavesPerEU: 12
; NamedBarCnt: 0
; Occupancy: 16
; WaveLimiterHint : 0
; COMPUTE_PGM_RSRC2:SCRATCH_EN: 0
; COMPUTE_PGM_RSRC2:USER_SGPR: 2
; COMPUTE_PGM_RSRC2:TRAP_HANDLER: 0
; COMPUTE_PGM_RSRC2:TGID_X_EN: 1
; COMPUTE_PGM_RSRC2:TGID_Y_EN: 1
; COMPUTE_PGM_RSRC2:TGID_Z_EN: 1
; COMPUTE_PGM_RSRC2:TIDIG_COMP_CNT: 0
	.section	.text._ZL33flash_attn_stream_k_fixup_generalILi96ELi32ELi1EEvPfPK15HIP_vector_typeIfLj2EEiiiiS1_IjLj3EES5_S5_S5_,"axG",@progbits,_ZL33flash_attn_stream_k_fixup_generalILi96ELi32ELi1EEvPfPK15HIP_vector_typeIfLj2EEiiiiS1_IjLj3EES5_S5_S5_,comdat
	.globl	_ZL33flash_attn_stream_k_fixup_generalILi96ELi32ELi1EEvPfPK15HIP_vector_typeIfLj2EEiiiiS1_IjLj3EES5_S5_S5_ ; -- Begin function _ZL33flash_attn_stream_k_fixup_generalILi96ELi32ELi1EEvPfPK15HIP_vector_typeIfLj2EEiiiiS1_IjLj3EES5_S5_S5_
	.p2align	8
	.type	_ZL33flash_attn_stream_k_fixup_generalILi96ELi32ELi1EEvPfPK15HIP_vector_typeIfLj2EEiiiiS1_IjLj3EES5_S5_S5_,@function
_ZL33flash_attn_stream_k_fixup_generalILi96ELi32ELi1EEvPfPK15HIP_vector_typeIfLj2EEiiiiS1_IjLj3EES5_S5_S5_: ; @_ZL33flash_attn_stream_k_fixup_generalILi96ELi32ELi1EEvPfPK15HIP_vector_typeIfLj2EEiiiiS1_IjLj3EES5_S5_S5_
; %bb.0:
	s_clause 0x1
	s_load_b128 s[4:7], s[0:1], 0x10
	s_load_b32 s16, s[0:1], 0x50
	s_bfe_u32 s2, ttmp6, 0x4000c
	s_and_b32 s3, ttmp6, 15
	s_add_co_i32 s2, s2, 1
	s_getreg_b32 s15, hwreg(HW_REG_IB_STS2, 6, 4)
	s_mul_i32 s2, ttmp9, s2
	s_mov_b32 s17, 0
	s_add_co_i32 s3, s3, s2
	s_cmp_eq_u32 s15, 0
	s_cselect_b32 s2, ttmp9, s3
	s_delay_alu instid0(SALU_CYCLE_1) | instskip(SKIP_3) | instid1(SALU_CYCLE_1)
	s_ashr_i32 s3, s2, 31
	s_wait_kmcnt 0x0
	s_ashr_i32 s19, s7, 31
	s_mov_b32 s18, s7
	s_mul_u64 s[8:9], s[18:19], s[2:3]
	s_delay_alu instid0(SALU_CYCLE_1) | instskip(NEXT) | instid1(SALU_CYCLE_1)
	s_and_b64 s[10:11], s[8:9], 0xffffffff00000000
	s_cmp_lg_u64 s[10:11], 0
	s_cbranch_scc0 .LBB17_21
; %bb.1:
	s_add_nc_u64 s[10:11], s[16:17], 0
	s_mov_b32 s23, s17
	s_xor_b64 s[10:11], s[10:11], 0
	s_mov_b32 s27, s17
	s_cvt_f32_u32 s3, s10
	s_cvt_f32_u32 s7, s11
	s_sub_nc_u64 s[20:21], 0, s[10:11]
	s_delay_alu instid0(SALU_CYCLE_2) | instskip(NEXT) | instid1(SALU_CYCLE_3)
	s_fmamk_f32 s3, s7, 0x4f800000, s3
	v_s_rcp_f32 s3, s3
	s_delay_alu instid0(TRANS32_DEP_1) | instskip(NEXT) | instid1(SALU_CYCLE_3)
	s_mul_f32 s3, s3, 0x5f7ffffc
	s_mul_f32 s7, s3, 0x2f800000
	s_delay_alu instid0(SALU_CYCLE_3) | instskip(NEXT) | instid1(SALU_CYCLE_3)
	s_trunc_f32 s7, s7
	s_fmamk_f32 s3, s7, 0xcf800000, s3
	s_cvt_u32_f32 s13, s7
	s_delay_alu instid0(SALU_CYCLE_2) | instskip(NEXT) | instid1(SALU_CYCLE_3)
	s_cvt_u32_f32 s12, s3
	s_mul_u64 s[24:25], s[20:21], s[12:13]
	s_delay_alu instid0(SALU_CYCLE_1)
	s_mul_hi_u32 s29, s12, s25
	s_mul_i32 s28, s12, s25
	s_mul_hi_u32 s22, s12, s24
	s_mul_i32 s7, s13, s24
	s_add_nc_u64 s[22:23], s[22:23], s[28:29]
	s_mul_hi_u32 s3, s13, s24
	s_mul_hi_u32 s14, s13, s25
	s_add_co_u32 s7, s22, s7
	s_add_co_ci_u32 s26, s23, s3
	s_mul_i32 s24, s13, s25
	s_add_co_ci_u32 s25, s14, 0
	s_delay_alu instid0(SALU_CYCLE_1) | instskip(SKIP_3) | instid1(SALU_CYCLE_1)
	s_add_nc_u64 s[22:23], s[26:27], s[24:25]
	s_mov_b32 s25, s17
	s_add_co_u32 s12, s12, s22
	s_cselect_b32 s3, -1, 0
	s_cmp_lg_u32 s3, 0
	s_add_co_ci_u32 s13, s13, s23
	s_mov_b32 s23, s17
	s_mul_u64 s[20:21], s[20:21], s[12:13]
	s_delay_alu instid0(SALU_CYCLE_1)
	s_mul_hi_u32 s27, s12, s21
	s_mul_i32 s26, s12, s21
	s_mul_hi_u32 s22, s12, s20
	s_mul_i32 s7, s13, s20
	s_add_nc_u64 s[22:23], s[22:23], s[26:27]
	s_mul_hi_u32 s3, s13, s20
	s_mul_hi_u32 s14, s13, s21
	s_add_co_u32 s7, s22, s7
	s_add_co_ci_u32 s24, s23, s3
	s_mul_i32 s20, s13, s21
	s_add_co_ci_u32 s21, s14, 0
	s_mov_b32 s23, s17
	s_add_nc_u64 s[20:21], s[24:25], s[20:21]
	s_delay_alu instid0(SALU_CYCLE_1) | instskip(SKIP_1) | instid1(SALU_CYCLE_1)
	s_add_co_u32 s3, s12, s20
	s_cselect_b32 s7, -1, 0
	s_cmp_lg_u32 s7, 0
	s_add_co_ci_u32 s7, s13, s21
	s_ashr_i32 s12, s9, 31
	s_delay_alu instid0(SALU_CYCLE_1) | instskip(NEXT) | instid1(SALU_CYCLE_1)
	s_mov_b32 s13, s12
	s_add_nc_u64 s[20:21], s[8:9], s[12:13]
	s_delay_alu instid0(SALU_CYCLE_1) | instskip(NEXT) | instid1(SALU_CYCLE_1)
	s_xor_b64 s[20:21], s[20:21], s[12:13]
	s_mul_hi_u32 s27, s20, s7
	s_mul_i32 s26, s20, s7
	s_mul_hi_u32 s22, s20, s3
	s_mul_hi_u32 s14, s21, s3
	s_mul_i32 s3, s21, s3
	s_add_nc_u64 s[22:23], s[22:23], s[26:27]
	s_mul_hi_u32 s9, s21, s7
	s_add_co_u32 s3, s22, s3
	s_add_co_ci_u32 s24, s23, s14
	s_mul_i32 s26, s21, s7
	s_add_co_ci_u32 s27, s9, 0
	s_delay_alu instid0(SALU_CYCLE_1) | instskip(NEXT) | instid1(SALU_CYCLE_1)
	s_add_nc_u64 s[22:23], s[24:25], s[26:27]
	s_and_b64 s[24:25], s[22:23], 0xffffffff00000000
	s_delay_alu instid0(SALU_CYCLE_1) | instskip(NEXT) | instid1(SALU_CYCLE_1)
	s_or_b32 s24, s24, s22
	s_mul_u64 s[22:23], s[10:11], s[24:25]
	s_add_nc_u64 s[26:27], s[24:25], 1
	s_sub_co_u32 s3, s20, s22
	s_cselect_b32 s7, -1, 0
	s_sub_co_i32 s9, s21, s23
	s_cmp_lg_u32 s7, 0
	s_add_nc_u64 s[28:29], s[24:25], 2
	s_sub_co_ci_u32 s9, s9, s11
	s_sub_co_u32 s14, s3, s10
	s_cselect_b32 s20, -1, 0
	s_delay_alu instid0(SALU_CYCLE_1) | instskip(SKIP_1) | instid1(SALU_CYCLE_1)
	s_cmp_lg_u32 s20, 0
	s_sub_co_ci_u32 s9, s9, 0
	s_cmp_ge_u32 s9, s11
	s_cselect_b32 s20, -1, 0
	s_cmp_ge_u32 s14, s10
	s_cselect_b32 s14, -1, 0
	s_cmp_eq_u32 s9, s11
	s_cselect_b32 s9, s14, s20
	s_delay_alu instid0(SALU_CYCLE_1) | instskip(SKIP_4) | instid1(SALU_CYCLE_1)
	s_cmp_lg_u32 s9, 0
	s_cselect_b32 s9, s28, s26
	s_cselect_b32 s14, s29, s27
	s_cmp_lg_u32 s7, 0
	s_sub_co_ci_u32 s7, s21, s23
	s_cmp_ge_u32 s7, s11
	s_cselect_b32 s20, -1, 0
	s_cmp_ge_u32 s3, s10
	s_cselect_b32 s3, -1, 0
	s_cmp_eq_u32 s7, s11
	s_cselect_b32 s3, s3, s20
	s_delay_alu instid0(SALU_CYCLE_1) | instskip(SKIP_4) | instid1(SALU_CYCLE_1)
	s_cmp_lg_u32 s3, 0
	s_mov_b32 s3, s17
	s_cselect_b32 s11, s14, s25
	s_cselect_b32 s10, s9, s24
	s_xor_b64 s[12:13], s[12:13], 0
	s_xor_b64 s[10:11], s[10:11], s[12:13]
	s_delay_alu instid0(SALU_CYCLE_1)
	s_sub_nc_u64 s[20:21], s[10:11], s[12:13]
	s_and_not1_b32 vcc_lo, exec_lo, s3
	s_cbranch_vccnz .LBB17_3
.LBB17_2:
	v_cvt_f32_u32_e32 v1, s16
	s_sub_co_i32 s7, 0, s16
	s_mov_b32 s21, 0
	s_delay_alu instid0(VALU_DEP_1) | instskip(SKIP_1) | instid1(TRANS32_DEP_1)
	v_rcp_iflag_f32_e32 v1, v1
	v_nop
	v_mul_f32_e32 v1, 0x4f7ffffe, v1
	s_delay_alu instid0(VALU_DEP_1) | instskip(NEXT) | instid1(VALU_DEP_1)
	v_cvt_u32_f32_e32 v1, v1
	v_readfirstlane_b32 s3, v1
	s_mul_i32 s7, s7, s3
	s_delay_alu instid0(SALU_CYCLE_1) | instskip(NEXT) | instid1(SALU_CYCLE_1)
	s_mul_hi_u32 s7, s3, s7
	s_add_co_i32 s3, s3, s7
	s_delay_alu instid0(SALU_CYCLE_1) | instskip(NEXT) | instid1(SALU_CYCLE_1)
	s_mul_hi_u32 s3, s8, s3
	s_mul_i32 s7, s3, s16
	s_delay_alu instid0(SALU_CYCLE_1)
	s_sub_co_i32 s7, s8, s7
	s_add_co_i32 s8, s3, 1
	s_sub_co_i32 s9, s7, s16
	s_cmp_ge_u32 s7, s16
	s_cselect_b32 s3, s8, s3
	s_cselect_b32 s7, s9, s7
	s_add_co_i32 s8, s3, 1
	s_cmp_ge_u32 s7, s16
	s_cselect_b32 s20, s8, s3
.LBB17_3:
	s_add_co_i32 s8, s2, 1
	s_delay_alu instid0(SALU_CYCLE_1) | instskip(NEXT) | instid1(SALU_CYCLE_1)
	s_ashr_i32 s9, s8, 31
	s_mul_u64 s[8:9], s[18:19], s[8:9]
	s_delay_alu instid0(SALU_CYCLE_1) | instskip(NEXT) | instid1(SALU_CYCLE_1)
	s_and_b64 s[10:11], s[8:9], 0xffffffff00000000
	s_cmp_lg_u64 s[10:11], 0
	s_cbranch_scc0 .LBB17_22
; %bb.4:
	s_add_nc_u64 s[10:11], s[16:17], 0
	s_delay_alu instid0(SALU_CYCLE_1) | instskip(SKIP_4) | instid1(SALU_CYCLE_2)
	s_xor_b64 s[12:13], s[10:11], 0
	s_mov_b32 s11, 0
	s_cvt_f32_u32 s3, s12
	s_cvt_f32_u32 s7, s13
	s_sub_nc_u64 s[24:25], 0, s[12:13]
	s_fmamk_f32 s3, s7, 0x4f800000, s3
	s_delay_alu instid0(SALU_CYCLE_3) | instskip(NEXT) | instid1(TRANS32_DEP_1)
	v_s_rcp_f32 s3, s3
	s_mul_f32 s3, s3, 0x5f7ffffc
	s_delay_alu instid0(SALU_CYCLE_3) | instskip(NEXT) | instid1(SALU_CYCLE_3)
	s_mul_f32 s7, s3, 0x2f800000
	s_trunc_f32 s7, s7
	s_delay_alu instid0(SALU_CYCLE_3) | instskip(SKIP_1) | instid1(SALU_CYCLE_2)
	s_fmamk_f32 s3, s7, 0xcf800000, s3
	s_cvt_u32_f32 s23, s7
	s_cvt_u32_f32 s22, s3
	s_delay_alu instid0(SALU_CYCLE_3) | instskip(NEXT) | instid1(SALU_CYCLE_1)
	s_mul_u64 s[26:27], s[24:25], s[22:23]
	s_mul_hi_u32 s29, s22, s27
	s_mul_i32 s28, s22, s27
	s_mul_hi_u32 s10, s22, s26
	s_mul_i32 s7, s23, s26
	s_add_nc_u64 s[28:29], s[10:11], s[28:29]
	s_mul_hi_u32 s3, s23, s26
	s_mul_hi_u32 s14, s23, s27
	s_add_co_u32 s7, s28, s7
	s_add_co_ci_u32 s10, s29, s3
	s_mul_i32 s26, s23, s27
	s_add_co_ci_u32 s27, s14, 0
	s_delay_alu instid0(SALU_CYCLE_1) | instskip(NEXT) | instid1(SALU_CYCLE_1)
	s_add_nc_u64 s[26:27], s[10:11], s[26:27]
	s_add_co_u32 s22, s22, s26
	s_cselect_b32 s3, -1, 0
	s_delay_alu instid0(SALU_CYCLE_1) | instskip(SKIP_1) | instid1(SALU_CYCLE_1)
	s_cmp_lg_u32 s3, 0
	s_add_co_ci_u32 s23, s23, s27
	s_mul_u64 s[24:25], s[24:25], s[22:23]
	s_delay_alu instid0(SALU_CYCLE_1)
	s_mul_hi_u32 s27, s22, s25
	s_mul_i32 s26, s22, s25
	s_mul_hi_u32 s10, s22, s24
	s_mul_i32 s7, s23, s24
	s_add_nc_u64 s[26:27], s[10:11], s[26:27]
	s_mul_hi_u32 s3, s23, s24
	s_mul_hi_u32 s14, s23, s25
	s_add_co_u32 s7, s26, s7
	s_add_co_ci_u32 s10, s27, s3
	s_mul_i32 s24, s23, s25
	s_add_co_ci_u32 s25, s14, 0
	s_delay_alu instid0(SALU_CYCLE_1) | instskip(NEXT) | instid1(SALU_CYCLE_1)
	s_add_nc_u64 s[24:25], s[10:11], s[24:25]
	s_add_co_u32 s3, s22, s24
	s_cselect_b32 s7, -1, 0
	s_delay_alu instid0(SALU_CYCLE_1) | instskip(SKIP_2) | instid1(SALU_CYCLE_1)
	s_cmp_lg_u32 s7, 0
	s_add_co_ci_u32 s7, s23, s25
	s_ashr_i32 s22, s9, 31
	s_mov_b32 s23, s22
	s_delay_alu instid0(SALU_CYCLE_1) | instskip(NEXT) | instid1(SALU_CYCLE_1)
	s_add_nc_u64 s[24:25], s[8:9], s[22:23]
	s_xor_b64 s[24:25], s[24:25], s[22:23]
	s_delay_alu instid0(SALU_CYCLE_1)
	s_mul_hi_u32 s27, s24, s7
	s_mul_i32 s26, s24, s7
	s_mul_hi_u32 s10, s24, s3
	s_mul_hi_u32 s14, s25, s3
	s_mul_i32 s3, s25, s3
	s_add_nc_u64 s[26:27], s[10:11], s[26:27]
	s_mul_hi_u32 s9, s25, s7
	s_add_co_u32 s3, s26, s3
	s_add_co_ci_u32 s10, s27, s14
	s_mul_i32 s28, s25, s7
	s_add_co_ci_u32 s29, s9, 0
	s_delay_alu instid0(SALU_CYCLE_1) | instskip(NEXT) | instid1(SALU_CYCLE_1)
	s_add_nc_u64 s[26:27], s[10:11], s[28:29]
	s_and_b64 s[28:29], s[26:27], 0xffffffff00000000
	s_delay_alu instid0(SALU_CYCLE_1) | instskip(NEXT) | instid1(SALU_CYCLE_1)
	s_or_b32 s28, s28, s26
	s_mul_u64 s[26:27], s[12:13], s[28:29]
	s_add_nc_u64 s[30:31], s[28:29], 1
	s_sub_co_u32 s3, s24, s26
	s_cselect_b32 s7, -1, 0
	s_sub_co_i32 s9, s25, s27
	s_cmp_lg_u32 s7, 0
	s_add_nc_u64 s[34:35], s[28:29], 2
	s_sub_co_ci_u32 s9, s9, s13
	s_sub_co_u32 s10, s3, s12
	s_cselect_b32 s14, -1, 0
	s_delay_alu instid0(SALU_CYCLE_1) | instskip(SKIP_1) | instid1(SALU_CYCLE_1)
	s_cmp_lg_u32 s14, 0
	s_sub_co_ci_u32 s9, s9, 0
	s_cmp_ge_u32 s9, s13
	s_cselect_b32 s14, -1, 0
	s_cmp_ge_u32 s10, s12
	s_cselect_b32 s10, -1, 0
	s_cmp_eq_u32 s9, s13
	s_cselect_b32 s9, s10, s14
	s_delay_alu instid0(SALU_CYCLE_1) | instskip(SKIP_4) | instid1(SALU_CYCLE_1)
	s_cmp_lg_u32 s9, 0
	s_cselect_b32 s9, s34, s30
	s_cselect_b32 s10, s35, s31
	s_cmp_lg_u32 s7, 0
	s_sub_co_ci_u32 s7, s25, s27
	s_cmp_ge_u32 s7, s13
	s_cselect_b32 s14, -1, 0
	s_cmp_ge_u32 s3, s12
	s_cselect_b32 s3, -1, 0
	s_cmp_eq_u32 s7, s13
	s_cselect_b32 s3, s3, s14
	s_delay_alu instid0(SALU_CYCLE_1) | instskip(SKIP_3) | instid1(SALU_CYCLE_1)
	s_cmp_lg_u32 s3, 0
	s_cselect_b32 s13, s10, s29
	s_cselect_b32 s12, s9, s28
	s_xor_b64 s[22:23], s[22:23], 0
	s_xor_b64 s[12:13], s[12:13], s[22:23]
	s_delay_alu instid0(SALU_CYCLE_1)
	s_sub_nc_u64 s[24:25], s[12:13], s[22:23]
	s_load_b96 s[12:14], s[0:1], 0x44
	s_cbranch_execnz .LBB17_6
.LBB17_5:
	v_cvt_f32_u32_e32 v1, s16
	s_sub_co_i32 s7, 0, s16
	s_delay_alu instid0(VALU_DEP_1) | instskip(SKIP_1) | instid1(TRANS32_DEP_1)
	v_rcp_iflag_f32_e32 v1, v1
	v_nop
	v_mul_f32_e32 v1, 0x4f7ffffe, v1
	s_delay_alu instid0(VALU_DEP_1) | instskip(NEXT) | instid1(VALU_DEP_1)
	v_cvt_u32_f32_e32 v1, v1
	v_readfirstlane_b32 s3, v1
	s_mul_i32 s7, s7, s3
	s_delay_alu instid0(SALU_CYCLE_1) | instskip(NEXT) | instid1(SALU_CYCLE_1)
	s_mul_hi_u32 s7, s3, s7
	s_add_co_i32 s3, s3, s7
	s_delay_alu instid0(SALU_CYCLE_1) | instskip(NEXT) | instid1(SALU_CYCLE_1)
	s_mul_hi_u32 s3, s8, s3
	s_mul_i32 s7, s3, s16
	s_delay_alu instid0(SALU_CYCLE_1)
	s_sub_co_i32 s7, s8, s7
	s_add_co_i32 s8, s3, 1
	s_sub_co_i32 s9, s7, s16
	s_cmp_ge_u32 s7, s16
	s_cselect_b32 s3, s8, s3
	s_cselect_b32 s7, s9, s7
	s_add_co_i32 s8, s3, 1
	s_cmp_ge_u32 s7, s16
	s_cselect_b32 s24, s8, s3
.LBB17_6:
	s_delay_alu instid0(SALU_CYCLE_1)
	s_cmp_eq_u32 s20, s24
	s_mov_b64 s[8:9], 0xffffffff
	s_cselect_b32 s3, -1, 0
	s_and_b64 s[8:9], s[20:21], s[8:9]
	s_mov_b32 s23, 0
	s_wait_kmcnt 0x0
	s_mov_b32 s22, s12
	s_mov_b32 s25, s23
	s_mul_u64 s[10:11], s[8:9], s[22:23]
	s_delay_alu instid0(SALU_CYCLE_1) | instskip(SKIP_2) | instid1(SALU_CYCLE_1)
	s_add_co_i32 s7, s11, s20
	s_mul_u64 s[10:11], s[24:25], s[22:23]
	s_lshr_b32 s12, s7, s13
	s_mul_i32 s7, s12, s14
	s_delay_alu instid0(SALU_CYCLE_1) | instskip(SKIP_2) | instid1(SALU_CYCLE_1)
	s_cmp_eq_u32 s7, s20
	s_cselect_b32 s7, -1, 0
	s_add_co_i32 s10, s11, s24
	s_lshr_b32 s10, s10, s13
	s_delay_alu instid0(SALU_CYCLE_1)
	s_cmp_eq_u32 s12, s10
	s_mul_i32 s10, s10, s14
	s_cselect_b32 s11, -1, 0
	s_cmp_lg_u32 s10, s24
	s_cselect_b32 s10, -1, 0
	s_or_b32 s3, s3, s7
	s_and_b32 s10, s11, s10
	s_delay_alu instid0(SALU_CYCLE_1) | instskip(NEXT) | instid1(SALU_CYCLE_1)
	s_or_b32 s3, s3, s10
	s_and_b32 vcc_lo, exec_lo, s3
	s_cbranch_vccnz .LBB17_24
; %bb.7:
	s_load_b256 s[24:31], s[0:1], 0x20
	s_bfe_u32 s7, ttmp6, 0x40014
	s_bfe_u32 s33, ttmp6, 0x40010
	s_lshr_b32 s3, ttmp7, 16
	s_add_co_i32 s7, s7, 1
	s_and_b32 s21, ttmp7, 0xffff
	s_add_co_i32 s33, s33, 1
	s_bfe_u32 s10, ttmp6, 0x40008
	s_mul_i32 s7, s3, s7
	s_bfe_u32 s34, ttmp6, 0x40004
	s_mul_i32 s33, s21, s33
	s_mov_b32 s11, s23
	s_add_co_i32 s7, s10, s7
	s_add_co_i32 s34, s34, s33
	s_cmp_eq_u32 s15, 0
	s_cselect_b32 s15, s21, s34
	s_cselect_b32 s3, s3, s7
	s_wait_kmcnt 0x0
	s_mov_b32 s10, s24
	s_delay_alu instid0(SALU_CYCLE_1) | instskip(SKIP_2) | instid1(SALU_CYCLE_1)
	s_mul_u64 s[8:9], s[8:9], s[10:11]
	s_load_b32 s8, s[0:1], 0x40
	s_add_co_i32 s7, s9, s20
	s_lshr_b32 s7, s7, s25
	s_delay_alu instid0(SALU_CYCLE_1) | instskip(NEXT) | instid1(SALU_CYCLE_1)
	s_mul_i32 s9, s7, s26
	s_sub_co_i32 s9, s20, s9
	s_delay_alu instid0(SALU_CYCLE_1) | instskip(NEXT) | instid1(SALU_CYCLE_1)
	s_mul_hi_u32 s10, s9, s27
	s_add_co_i32 s10, s9, s10
	s_delay_alu instid0(SALU_CYCLE_1) | instskip(NEXT) | instid1(SALU_CYCLE_1)
	s_lshr_b32 s21, s10, s28
	s_mul_i32 s10, s21, s29
	s_delay_alu instid0(SALU_CYCLE_1) | instskip(NEXT) | instid1(SALU_CYCLE_1)
	s_sub_co_i32 s10, s9, s10
	s_mul_hi_u32 s9, s10, s30
	s_delay_alu instid0(SALU_CYCLE_1) | instskip(NEXT) | instid1(SALU_CYCLE_1)
	s_add_co_i32 s9, s10, s9
	s_lshr_b32 s25, s9, s31
	s_mov_b32 s9, s23
	s_wait_kmcnt 0x0
	s_mul_i32 s8, s25, s8
	s_delay_alu instid0(SALU_CYCLE_1) | instskip(NEXT) | instid1(SALU_CYCLE_1)
	s_sub_co_i32 s8, s10, s8
	s_mul_u64 s[10:11], s[8:9], s[22:23]
	s_delay_alu instid0(SALU_CYCLE_1) | instskip(NEXT) | instid1(SALU_CYCLE_1)
	s_add_co_i32 s8, s8, s11
	s_lshr_b32 s24, s8, s13
	s_delay_alu instid0(SALU_CYCLE_1) | instskip(NEXT) | instid1(SALU_CYCLE_1)
	s_lshl_b32 s8, s24, 5
	s_add_co_i32 s8, s8, s15
	s_delay_alu instid0(SALU_CYCLE_1) | instskip(SKIP_2) | instid1(SALU_CYCLE_1)
	s_cmp_lt_i32 s8, s4
	s_cselect_b32 s8, -1, 0
	s_add_co_i32 s25, s25, s3
	s_cmp_lt_i32 s25, s6
	s_cselect_b32 s9, -1, 0
	s_delay_alu instid0(SALU_CYCLE_1) | instskip(NEXT) | instid1(SALU_CYCLE_1)
	s_and_b32 s8, s8, s9
	s_and_not1_b32 vcc_lo, exec_lo, s8
	s_cbranch_vccnz .LBB17_24
; %bb.8:
	s_load_b128 s[8:11], s[0:1], 0x0
	s_wait_xcnt 0x0
	s_mul_i32 s0, s7, s4
	s_mul_i32 s21, s21, s6
	s_add_co_i32 s0, s0, s15
	s_add_co_i32 s1, s25, s21
	s_mul_i32 s0, s0, s5
	s_mul_i32 s4, s5, s24
	s_add_co_i32 s0, s1, s0
	s_mulk_i32 s4, 0xc00
	s_mulk_i32 s0, 0x60
	s_add_co_i32 s15, s15, s3
	v_add3_u32 v2, s4, s0, v0
	s_add_nc_u64 s[0:1], s[16:17], 0
	v_cvt_f32_u32_e32 v4, s16
	s_xor_b64 s[6:7], s[0:1], 0
	s_lshl_b32 s0, s2, 5
	s_cvt_f32_u32 s3, s6
	s_cvt_f32_u32 s4, s7
	s_add_co_i32 s0, s0, s15
	v_rcp_iflag_f32_e32 v4, v4
	s_wait_kmcnt 0x0
	global_load_b32 v1, v2, s[8:9] scale_offset
	s_fmamk_f32 s3, s4, 0x4f800000, s3
	s_ashr_i32 s1, s0, 31
	s_lshl_b32 s24, s16, 7
	s_lshl_b64 s[0:1], s[0:1], 3
	v_s_rcp_f32 s3, s3
	s_add_nc_u64 s[0:1], s[10:11], s[0:1]
	s_mov_b32 s25, 0
	s_load_b64 s[28:29], s[0:1], 0x0
	v_mad_u32 v6, 0x60, s15, v0
	v_dual_mul_f32 v4, 0x4f7ffffe, v4 :: v_dual_ashrrev_i32 v3, 31, v2
	s_wait_xcnt 0x0
	s_lshl_b64 s[0:1], s[24:25], 2
	s_mul_f32 s3, s3, 0x5f7ffffc
	s_add_nc_u64 s[26:27], s[10:11], s[0:1]
	v_lshl_add_u64 v[2:3], v[2:3], 2, s[8:9]
	v_cvt_u32_f32_e32 v7, v4
	s_mul_f32 s4, s3, 0x2f800000
	s_mov_b64 s[8:9], 0xffffffff
	s_add_co_i32 s36, s2, -1
	s_sub_nc_u64 s[34:35], 0, s[6:7]
	s_trunc_f32 s4, s4
	s_delay_alu instid0(SALU_CYCLE_3)
	s_fmamk_f32 s0, s4, 0xcf800000, s3
	s_cvt_u32_f32 s31, s4
	s_wait_kmcnt 0x0
	v_mov_b32_e32 v0, s29
	s_cvt_u32_f32 s30, s0
.LBB17_9:                               ; =>This Inner Loop Header: Depth=1
	s_ashr_i32 s37, s36, 31
                                        ; implicit-def: $sgpr40_sgpr41
	s_delay_alu instid0(SALU_CYCLE_1) | instskip(NEXT) | instid1(SALU_CYCLE_1)
	s_mul_u64 s[0:1], s[36:37], s[18:19]
	s_and_b64 s[2:3], s[0:1], 0xffffffff00000000
	s_delay_alu instid0(SALU_CYCLE_1)
	s_cmp_lg_u64 s[2:3], 0
	s_mov_b32 s2, -1
	s_cbranch_scc0 .LBB17_11
; %bb.10:                               ;   in Loop: Header=BB17_9 Depth=1
	s_mul_u64 s[2:3], s[34:35], s[30:31]
	s_delay_alu instid0(SALU_CYCLE_1)
	s_mul_hi_u32 s5, s30, s3
	s_mul_i32 s4, s30, s3
	s_mul_hi_u32 s24, s30, s2
	s_mul_hi_u32 s17, s31, s2
	s_add_nc_u64 s[4:5], s[24:25], s[4:5]
	s_mul_i32 s2, s31, s2
	s_mul_hi_u32 s21, s31, s3
	s_add_co_u32 s2, s4, s2
	s_add_co_ci_u32 s24, s5, s17
	s_add_co_ci_u32 s5, s21, 0
	s_mul_i32 s4, s31, s3
	s_delay_alu instid0(SALU_CYCLE_1) | instskip(NEXT) | instid1(SALU_CYCLE_1)
	s_add_nc_u64 s[2:3], s[24:25], s[4:5]
	s_add_co_u32 s2, s30, s2
	s_cselect_b32 s4, -1, 0
	s_delay_alu instid0(SALU_CYCLE_1) | instskip(SKIP_1) | instid1(SALU_CYCLE_1)
	s_cmp_lg_u32 s4, 0
	s_add_co_ci_u32 s3, s31, s3
	s_mul_u64 s[4:5], s[34:35], s[2:3]
	s_delay_alu instid0(SALU_CYCLE_1)
	s_mul_hi_u32 s39, s2, s5
	s_mul_i32 s38, s2, s5
	s_mul_hi_u32 s24, s2, s4
	s_mul_hi_u32 s17, s3, s4
	s_mul_i32 s4, s3, s4
	s_add_nc_u64 s[38:39], s[24:25], s[38:39]
	s_mul_hi_u32 s21, s3, s5
	s_add_co_u32 s4, s38, s4
	s_add_co_ci_u32 s24, s39, s17
	s_mul_i32 s4, s3, s5
	s_add_co_ci_u32 s5, s21, 0
	s_delay_alu instid0(SALU_CYCLE_1) | instskip(NEXT) | instid1(SALU_CYCLE_1)
	s_add_nc_u64 s[4:5], s[24:25], s[4:5]
	s_add_co_u32 s17, s2, s4
	s_cselect_b32 s2, -1, 0
	s_delay_alu instid0(SALU_CYCLE_1) | instskip(SKIP_2) | instid1(SALU_CYCLE_1)
	s_cmp_lg_u32 s2, 0
	s_add_co_ci_u32 s21, s3, s5
	s_ashr_i32 s2, s1, 31
	s_mov_b32 s3, s2
	s_delay_alu instid0(SALU_CYCLE_1) | instskip(NEXT) | instid1(SALU_CYCLE_1)
	s_add_nc_u64 s[4:5], s[0:1], s[2:3]
	s_xor_b64 s[4:5], s[4:5], s[2:3]
	s_delay_alu instid0(SALU_CYCLE_1)
	s_mul_hi_u32 s39, s4, s21
	s_mul_i32 s38, s4, s21
	s_mul_hi_u32 s24, s4, s17
	s_mul_hi_u32 s29, s5, s17
	s_mul_i32 s17, s5, s17
	s_add_nc_u64 s[38:39], s[24:25], s[38:39]
	s_mul_hi_u32 s1, s5, s21
	s_add_co_u32 s17, s38, s17
	s_add_co_ci_u32 s24, s39, s29
	s_mul_i32 s40, s5, s21
	s_add_co_ci_u32 s41, s1, 0
	s_delay_alu instid0(SALU_CYCLE_1) | instskip(NEXT) | instid1(SALU_CYCLE_1)
	s_add_nc_u64 s[38:39], s[24:25], s[40:41]
	s_and_b64 s[40:41], s[38:39], 0xffffffff00000000
	s_delay_alu instid0(SALU_CYCLE_1) | instskip(NEXT) | instid1(SALU_CYCLE_1)
	s_or_b32 s40, s40, s38
	s_mul_u64 s[38:39], s[6:7], s[40:41]
	s_add_nc_u64 s[42:43], s[40:41], 1
	s_sub_co_u32 s1, s4, s38
	s_cselect_b32 s4, -1, 0
	s_sub_co_i32 s17, s5, s39
	s_cmp_lg_u32 s4, 0
	s_add_nc_u64 s[44:45], s[40:41], 2
	s_sub_co_ci_u32 s17, s17, s7
	s_sub_co_u32 s21, s1, s6
	s_cselect_b32 s24, -1, 0
	s_delay_alu instid0(SALU_CYCLE_1) | instskip(SKIP_1) | instid1(SALU_CYCLE_1)
	s_cmp_lg_u32 s24, 0
	s_sub_co_ci_u32 s17, s17, 0
	s_cmp_ge_u32 s17, s7
	s_cselect_b32 s24, -1, 0
	s_cmp_ge_u32 s21, s6
	s_cselect_b32 s21, -1, 0
	s_cmp_eq_u32 s17, s7
	s_cselect_b32 s17, s21, s24
	s_delay_alu instid0(SALU_CYCLE_1) | instskip(SKIP_4) | instid1(SALU_CYCLE_1)
	s_cmp_lg_u32 s17, 0
	s_cselect_b32 s17, s44, s42
	s_cselect_b32 s21, s45, s43
	s_cmp_lg_u32 s4, 0
	s_sub_co_ci_u32 s4, s5, s39
	s_cmp_ge_u32 s4, s7
	s_cselect_b32 s5, -1, 0
	s_cmp_ge_u32 s1, s6
	s_cselect_b32 s1, -1, 0
	s_cmp_eq_u32 s4, s7
	s_cselect_b32 s1, s1, s5
	s_delay_alu instid0(SALU_CYCLE_1) | instskip(SKIP_3) | instid1(SALU_CYCLE_1)
	s_cmp_lg_u32 s1, 0
	s_cselect_b32 s5, s21, s41
	s_cselect_b32 s4, s17, s40
	s_xor_b64 s[2:3], s[2:3], 0
	s_xor_b64 s[4:5], s[4:5], s[2:3]
	s_delay_alu instid0(SALU_CYCLE_1)
	s_sub_nc_u64 s[40:41], s[4:5], s[2:3]
	s_mov_b32 s2, 0
.LBB17_11:                              ;   in Loop: Header=BB17_9 Depth=1
	s_delay_alu instid0(SALU_CYCLE_1)
	s_and_not1_b32 vcc_lo, exec_lo, s2
	s_cbranch_vccnz .LBB17_13
; %bb.12:                               ;   in Loop: Header=BB17_9 Depth=1
	v_readfirstlane_b32 s1, v7
	s_sub_co_i32 s2, 0, s16
	s_delay_alu instid0(SALU_CYCLE_1) | instskip(NEXT) | instid1(SALU_CYCLE_1)
	s_mul_i32 s2, s2, s1
	s_mul_hi_u32 s2, s1, s2
	s_delay_alu instid0(SALU_CYCLE_1) | instskip(NEXT) | instid1(SALU_CYCLE_1)
	s_add_co_i32 s1, s1, s2
	s_mul_hi_u32 s1, s0, s1
	s_delay_alu instid0(SALU_CYCLE_1) | instskip(NEXT) | instid1(SALU_CYCLE_1)
	s_mul_i32 s2, s1, s16
	s_sub_co_i32 s0, s0, s2
	s_add_co_i32 s2, s1, 1
	s_sub_co_i32 s3, s0, s16
	s_cmp_ge_u32 s0, s16
	s_cselect_b32 s1, s2, s1
	s_cselect_b32 s0, s3, s0
	s_add_co_i32 s2, s1, 1
	s_cmp_ge_u32 s0, s16
	s_cselect_b32 s24, s2, s1
	s_delay_alu instid0(SALU_CYCLE_1)
	s_mov_b64 s[40:41], s[24:25]
.LBB17_13:                              ;   in Loop: Header=BB17_9 Depth=1
	s_delay_alu instid0(SALU_CYCLE_1)
	s_cmp_lg_u32 s20, s40
	s_mov_b32 s0, -1
                                        ; implicit-def: $vgpr4_vgpr5
                                        ; implicit-def: $sgpr24
                                        ; implicit-def: $sgpr17
                                        ; implicit-def: $sgpr21
                                        ; implicit-def: $sgpr29
	s_cbranch_scc0 .LBB17_18
; %bb.14:                               ;   in Loop: Header=BB17_9 Depth=1
	s_add_co_i32 s0, s36, s16
	v_max_num_f32_e64 v4, s28, s28
	s_lshl_b32 s0, s0, 5
	s_mov_b32 s29, s20
	s_add_co_i32 s0, s0, s15
	s_load_b64 s[38:39], s[10:11], s0 offset:0x0 scale_offset
	s_wait_xcnt 0x0
	v_readfirstlane_b32 s0, v4
	s_wait_kmcnt 0x0
	v_max_num_f32_e64 v5, s38, s38
	s_delay_alu instid0(VALU_DEP_1) | instskip(SKIP_1) | instid1(SALU_CYCLE_3)
	v_readfirstlane_b32 s1, v5
	s_max_num_f32 s17, s0, s1
	s_sub_f32 s33, s28, s17
	s_sub_f32 s37, s38, s17
	s_delay_alu instid0(SALU_CYCLE_2)
	s_cmp_nlt_f32 s33, 0xc2ce8ed0
	s_cselect_b32 s1, -1, 0
	s_cmp_ngt_f32 s33, 0x42b17218
	s_cselect_b32 s2, -1, 0
	s_cmp_ge_f32 s33, 0xc1a00000
	s_cselect_b32 s0, -1, 0
	s_cmp_nlt_f32 s37, 0xc2ce8ed0
	s_cselect_b32 s3, -1, 0
	s_cmp_ngt_f32 s37, 0x42b17218
	s_cselect_b32 s4, -1, 0
	s_cmp_ge_f32 s37, 0xc1a00000
	s_cselect_b32 s5, -1, 0
	s_and_b64 s[42:43], s[40:41], s[8:9]
	s_delay_alu instid0(SALU_CYCLE_1) | instskip(NEXT) | instid1(SALU_CYCLE_1)
	s_mul_u64 s[42:43], s[42:43], s[22:23]
	s_add_co_i32 s21, s43, s40
	s_delay_alu instid0(SALU_CYCLE_1) | instskip(NEXT) | instid1(SALU_CYCLE_1)
	s_lshr_b32 s21, s21, s13
	s_mul_i32 s24, s21, s14
	s_delay_alu instid0(SALU_CYCLE_1) | instskip(SKIP_3) | instid1(SALU_CYCLE_1)
	s_cmp_eq_u32 s24, s40
	s_cselect_b32 s24, -1, 0
	s_cmp_lt_u32 s21, s12
	s_cselect_b32 s21, -1, 0
	s_or_b32 s21, s21, s24
	s_mov_b32 s24, -1
	s_and_b32 vcc_lo, exec_lo, s21
	s_mov_b32 s21, s36
	s_cbranch_vccnz .LBB17_16
; %bb.15:                               ;   in Loop: Header=BB17_9 Depth=1
	s_add_co_i32 s21, s36, -1
	s_mov_b32 s24, 0
	s_mov_b32 s29, s40
.LBB17_16:                              ;   in Loop: Header=BB17_9 Depth=1
	v_mad_u32 v4, 0xc00, s36, v6
	s_mul_f32 s40, s33, 0x3fb8aa3b
	s_mul_f32 s38, s37, 0x3fb8aa3b
	s_delay_alu instid0(SALU_CYCLE_2)
	s_xor_b32 s42, s40, 0x80000000
	s_rndne_f32 s44, s40
	s_fmamk_f32 s42, s33, 0x3fb8aa3b, s42
	s_xor_b32 s41, s38, 0x80000000
	s_rndne_f32 s43, s38
	s_sub_f32 s40, s40, s44
	global_load_b32 v5, v4, s[26:27] scale_offset
	s_fmamk_f32 s33, s33, 0x32a5705f, s42
	s_fmamk_f32 s41, s37, 0x3fb8aa3b, s41
	s_sub_f32 s38, s38, s43
	s_delay_alu instid0(SALU_CYCLE_1) | instskip(NEXT) | instid1(SALU_CYCLE_1)
	s_add_f32 s33, s40, s33
	s_fmamk_f32 s37, s37, 0x32a5705f, s41
	s_cvt_i32_f32 s40, s44
	s_delay_alu instid0(SALU_CYCLE_1) | instskip(NEXT) | instid1(SALU_CYCLE_1)
	v_s_exp_f32 s33, s33
	s_add_f32 s37, s38, s37
	s_cvt_i32_f32 s38, s43
	s_delay_alu instid0(SALU_CYCLE_2) | instskip(NEXT) | instid1(TRANS32_DEP_2)
	v_s_exp_f32 s37, s37
	v_ldexp_f32 v8, s33, s40
	s_wait_xcnt 0x0
	s_delay_alu instid0(TRANS32_DEP_1) | instskip(NEXT) | instid1(VALU_DEP_2)
	v_ldexp_f32 v4, s37, s38
	v_cndmask_b32_e64 v8, 0, v8, s1
	s_delay_alu instid0(VALU_DEP_1) | instskip(NEXT) | instid1(VALU_DEP_1)
	v_cndmask_b32_e64 v9, 0x7f800000, v8, s2
	v_dual_cndmask_b32 v4, 0, v4, s3 :: v_dual_cndmask_b32 v10, 0, v9, s0
	s_delay_alu instid0(VALU_DEP_1) | instskip(NEXT) | instid1(VALU_DEP_1)
	v_cndmask_b32_e64 v4, 0x7f800000, v4, s4
	v_dual_cndmask_b32 v8, 0, v4, s5 :: v_dual_mov_b32 v4, s39
	s_wait_loadcnt 0x0
	s_delay_alu instid0(VALU_DEP_1) | instskip(NEXT) | instid1(VALU_DEP_1)
	v_pk_mul_f32 v[4:5], v[4:5], v[8:9] op_sel_hi:[1,0]
	v_pk_fma_f32 v[4:5], v[0:1], v[10:11], v[4:5] op_sel_hi:[1,0,1]
	s_cbranch_execz .LBB17_19
.LBB17_17:                              ;   in Loop: Header=BB17_9 Depth=1
	s_and_not1_b32 vcc_lo, exec_lo, s24
	s_cbranch_vccnz .LBB17_20
	s_branch .LBB17_23
.LBB17_18:                              ;   in Loop: Header=BB17_9 Depth=1
	s_and_not1_b32 vcc_lo, exec_lo, s0
	s_cbranch_vccnz .LBB17_17
.LBB17_19:                              ;   in Loop: Header=BB17_9 Depth=1
	s_wait_loadcnt 0x0
	v_mov_b64_e32 v[4:5], v[0:1]
	s_add_co_i32 s21, s36, -1
	s_mov_b32 s29, s20
	s_mov_b32 s17, s28
	s_cbranch_execz .LBB17_23
.LBB17_20:                              ;   in Loop: Header=BB17_9 Depth=1
	s_wait_loadcnt 0x0
	s_delay_alu instid0(VALU_DEP_1)
	v_mov_b64_e32 v[0:1], v[4:5]
	s_mov_b32 s20, s29
	s_mov_b32 s36, s21
	;; [unrolled: 1-line block ×3, first 2 shown]
	s_branch .LBB17_9
.LBB17_21:
                                        ; implicit-def: $sgpr20_sgpr21
	s_branch .LBB17_2
.LBB17_22:
                                        ; implicit-def: $sgpr24_sgpr25
	s_load_b96 s[12:14], s[0:1], 0x44
	s_branch .LBB17_5
.LBB17_23:
	s_delay_alu instid0(VALU_DEP_1) | instskip(SKIP_1) | instid1(VALU_DEP_1)
	v_div_scale_f32 v0, null, v4, v4, v5
	s_wait_loadcnt 0x0
	v_rcp_f32_e32 v1, v0
	v_nop
	s_delay_alu instid0(TRANS32_DEP_1) | instskip(NEXT) | instid1(VALU_DEP_1)
	v_fma_f32 v6, -v0, v1, 1.0
	v_fmac_f32_e32 v1, v6, v1
	v_div_scale_f32 v6, vcc_lo, v5, v4, v5
	s_delay_alu instid0(VALU_DEP_1) | instskip(NEXT) | instid1(VALU_DEP_1)
	v_mul_f32_e32 v7, v6, v1
	v_fma_f32 v8, -v0, v7, v6
	s_delay_alu instid0(VALU_DEP_1) | instskip(NEXT) | instid1(VALU_DEP_1)
	v_fmac_f32_e32 v7, v8, v1
	v_fma_f32 v0, -v0, v7, v6
	s_delay_alu instid0(VALU_DEP_1) | instskip(NEXT) | instid1(VALU_DEP_1)
	v_div_fmas_f32 v0, v0, v1, v7
	v_div_fixup_f32 v0, v0, v4, v5
	global_store_b32 v[2:3], v0, off
.LBB17_24:
	s_endpgm
	.section	.rodata,"a",@progbits
	.p2align	6, 0x0
	.amdhsa_kernel _ZL33flash_attn_stream_k_fixup_generalILi96ELi32ELi1EEvPfPK15HIP_vector_typeIfLj2EEiiiiS1_IjLj3EES5_S5_S5_
		.amdhsa_group_segment_fixed_size 0
		.amdhsa_private_segment_fixed_size 0
		.amdhsa_kernarg_size 336
		.amdhsa_user_sgpr_count 2
		.amdhsa_user_sgpr_dispatch_ptr 0
		.amdhsa_user_sgpr_queue_ptr 0
		.amdhsa_user_sgpr_kernarg_segment_ptr 1
		.amdhsa_user_sgpr_dispatch_id 0
		.amdhsa_user_sgpr_kernarg_preload_length 0
		.amdhsa_user_sgpr_kernarg_preload_offset 0
		.amdhsa_user_sgpr_private_segment_size 0
		.amdhsa_wavefront_size32 1
		.amdhsa_uses_dynamic_stack 0
		.amdhsa_enable_private_segment 0
		.amdhsa_system_sgpr_workgroup_id_x 1
		.amdhsa_system_sgpr_workgroup_id_y 1
		.amdhsa_system_sgpr_workgroup_id_z 1
		.amdhsa_system_sgpr_workgroup_info 0
		.amdhsa_system_vgpr_workitem_id 0
		.amdhsa_next_free_vgpr 12
		.amdhsa_next_free_sgpr 46
		.amdhsa_named_barrier_count 0
		.amdhsa_reserve_vcc 1
		.amdhsa_float_round_mode_32 0
		.amdhsa_float_round_mode_16_64 0
		.amdhsa_float_denorm_mode_32 3
		.amdhsa_float_denorm_mode_16_64 3
		.amdhsa_fp16_overflow 0
		.amdhsa_memory_ordered 1
		.amdhsa_forward_progress 1
		.amdhsa_inst_pref_size 27
		.amdhsa_round_robin_scheduling 0
		.amdhsa_exception_fp_ieee_invalid_op 0
		.amdhsa_exception_fp_denorm_src 0
		.amdhsa_exception_fp_ieee_div_zero 0
		.amdhsa_exception_fp_ieee_overflow 0
		.amdhsa_exception_fp_ieee_underflow 0
		.amdhsa_exception_fp_ieee_inexact 0
		.amdhsa_exception_int_div_zero 0
	.end_amdhsa_kernel
	.section	.text._ZL33flash_attn_stream_k_fixup_generalILi96ELi32ELi1EEvPfPK15HIP_vector_typeIfLj2EEiiiiS1_IjLj3EES5_S5_S5_,"axG",@progbits,_ZL33flash_attn_stream_k_fixup_generalILi96ELi32ELi1EEvPfPK15HIP_vector_typeIfLj2EEiiiiS1_IjLj3EES5_S5_S5_,comdat
.Lfunc_end17:
	.size	_ZL33flash_attn_stream_k_fixup_generalILi96ELi32ELi1EEvPfPK15HIP_vector_typeIfLj2EEiiiiS1_IjLj3EES5_S5_S5_, .Lfunc_end17-_ZL33flash_attn_stream_k_fixup_generalILi96ELi32ELi1EEvPfPK15HIP_vector_typeIfLj2EEiiiiS1_IjLj3EES5_S5_S5_
                                        ; -- End function
	.set _ZL33flash_attn_stream_k_fixup_generalILi96ELi32ELi1EEvPfPK15HIP_vector_typeIfLj2EEiiiiS1_IjLj3EES5_S5_S5_.num_vgpr, 12
	.set _ZL33flash_attn_stream_k_fixup_generalILi96ELi32ELi1EEvPfPK15HIP_vector_typeIfLj2EEiiiiS1_IjLj3EES5_S5_S5_.num_agpr, 0
	.set _ZL33flash_attn_stream_k_fixup_generalILi96ELi32ELi1EEvPfPK15HIP_vector_typeIfLj2EEiiiiS1_IjLj3EES5_S5_S5_.numbered_sgpr, 46
	.set _ZL33flash_attn_stream_k_fixup_generalILi96ELi32ELi1EEvPfPK15HIP_vector_typeIfLj2EEiiiiS1_IjLj3EES5_S5_S5_.num_named_barrier, 0
	.set _ZL33flash_attn_stream_k_fixup_generalILi96ELi32ELi1EEvPfPK15HIP_vector_typeIfLj2EEiiiiS1_IjLj3EES5_S5_S5_.private_seg_size, 0
	.set _ZL33flash_attn_stream_k_fixup_generalILi96ELi32ELi1EEvPfPK15HIP_vector_typeIfLj2EEiiiiS1_IjLj3EES5_S5_S5_.uses_vcc, 1
	.set _ZL33flash_attn_stream_k_fixup_generalILi96ELi32ELi1EEvPfPK15HIP_vector_typeIfLj2EEiiiiS1_IjLj3EES5_S5_S5_.uses_flat_scratch, 0
	.set _ZL33flash_attn_stream_k_fixup_generalILi96ELi32ELi1EEvPfPK15HIP_vector_typeIfLj2EEiiiiS1_IjLj3EES5_S5_S5_.has_dyn_sized_stack, 0
	.set _ZL33flash_attn_stream_k_fixup_generalILi96ELi32ELi1EEvPfPK15HIP_vector_typeIfLj2EEiiiiS1_IjLj3EES5_S5_S5_.has_recursion, 0
	.set _ZL33flash_attn_stream_k_fixup_generalILi96ELi32ELi1EEvPfPK15HIP_vector_typeIfLj2EEiiiiS1_IjLj3EES5_S5_S5_.has_indirect_call, 0
	.section	.AMDGPU.csdata,"",@progbits
; Kernel info:
; codeLenInByte = 3344
; TotalNumSgprs: 48
; NumVgprs: 12
; ScratchSize: 0
; MemoryBound: 0
; FloatMode: 240
; IeeeMode: 1
; LDSByteSize: 0 bytes/workgroup (compile time only)
; SGPRBlocks: 0
; VGPRBlocks: 0
; NumSGPRsForWavesPerEU: 48
; NumVGPRsForWavesPerEU: 12
; NamedBarCnt: 0
; Occupancy: 16
; WaveLimiterHint : 0
; COMPUTE_PGM_RSRC2:SCRATCH_EN: 0
; COMPUTE_PGM_RSRC2:USER_SGPR: 2
; COMPUTE_PGM_RSRC2:TRAP_HANDLER: 0
; COMPUTE_PGM_RSRC2:TGID_X_EN: 1
; COMPUTE_PGM_RSRC2:TGID_Y_EN: 1
; COMPUTE_PGM_RSRC2:TGID_Z_EN: 1
; COMPUTE_PGM_RSRC2:TIDIG_COMP_CNT: 0
	.section	.text._ZL26flash_attn_combine_resultsILi96EEvPKfPK15HIP_vector_typeIfLj2EEPfi,"axG",@progbits,_ZL26flash_attn_combine_resultsILi96EEvPKfPK15HIP_vector_typeIfLj2EEPfi,comdat
	.globl	_ZL26flash_attn_combine_resultsILi96EEvPKfPK15HIP_vector_typeIfLj2EEPfi ; -- Begin function _ZL26flash_attn_combine_resultsILi96EEvPKfPK15HIP_vector_typeIfLj2EEPfi
	.p2align	8
	.type	_ZL26flash_attn_combine_resultsILi96EEvPKfPK15HIP_vector_typeIfLj2EEPfi,@function
_ZL26flash_attn_combine_resultsILi96EEvPKfPK15HIP_vector_typeIfLj2EEPfi: ; @_ZL26flash_attn_combine_resultsILi96EEvPKfPK15HIP_vector_typeIfLj2EEPfi
; %bb.0:
	s_clause 0x2
	s_load_b128 s[4:7], s[0:1], 0x0
	s_load_b96 s[8:10], s[0:1], 0x10
	s_load_b64 s[2:3], s[0:1], 0x20
	s_bfe_u32 s11, ttmp6, 0x4000c
	s_wait_xcnt 0x0
	s_and_b32 s0, ttmp6, 15
	s_add_co_i32 s11, s11, 1
	s_and_b32 s12, ttmp7, 0xffff
	s_mul_i32 s1, ttmp9, s11
	s_bfe_u32 s11, ttmp6, 0x40010
	s_bfe_u32 s13, ttmp6, 0x40014
	s_add_co_i32 s11, s11, 1
	s_add_co_i32 s0, s0, s1
	s_mul_i32 s1, s12, s11
	s_bfe_u32 s11, ttmp6, 0x40004
	s_lshr_b32 s14, ttmp7, 16
	s_add_co_i32 s13, s13, 1
	s_add_co_i32 s11, s11, s1
	s_mul_i32 s1, s14, s13
	s_bfe_u32 s13, ttmp6, 0x40008
	s_getreg_b32 s15, hwreg(HW_REG_IB_STS2, 6, 4)
	s_add_co_i32 s13, s13, s1
	s_cmp_eq_u32 s15, 0
	v_mov_b32_e32 v2, v0
	s_cselect_b32 s1, s14, s13
	s_cselect_b32 s0, ttmp9, s0
	s_wait_kmcnt 0x0
	s_mul_i32 s1, s2, s1
	s_cselect_b32 s2, s12, s11
	s_add_co_i32 s0, s1, s0
	s_lshl_b32 s12, s10, 1
	s_mul_i32 s11, s0, s3
	s_mov_b32 s13, exec_lo
	s_add_co_i32 s11, s11, s2
	s_delay_alu instid0(SALU_CYCLE_1)
	s_mul_i32 s2, s11, s10
	v_cmpx_gt_i32_e64 s12, v0
	s_cbranch_execz .LBB18_13
; %bb.1:
	v_xad_u32 v1, v0, -1, s12
	s_ashr_i32 s3, s2, 31
	s_mov_b32 s0, -1
	s_mov_b32 s14, exec_lo
	s_delay_alu instid0(VALU_DEP_1)
	v_cmpx_lt_u32_e32 0x5f, v1
	s_cbranch_execz .LBB18_10
; %bb.2:
	v_mul_hi_u32 v1, 0xaaaaaaab, v1
	s_lshl_b64 s[0:1], s[2:3], 3
	v_mov_b32_e32 v4, 0
	s_add_nc_u64 s[0:1], s[6:7], s[0:1]
	s_delay_alu instid0(VALU_DEP_2) | instskip(SKIP_1) | instid1(VALU_DEP_2)
	v_lshrrev_b32_e32 v6, 6, v1
	v_add_nc_u32_e32 v1, 0x60, v0
	v_add_nc_u32_e32 v2, -1, v6
	s_delay_alu instid0(VALU_DEP_1) | instskip(SKIP_1) | instid1(VALU_DEP_2)
	v_lshrrev_b32_e32 v3, 1, v2
	v_cmp_lt_u32_e32 vcc_lo, 13, v2
	v_add_nc_u32_e32 v7, 1, v3
	v_mov_b64_e32 v[2:3], v[0:1]
	s_and_saveexec_b32 s15, vcc_lo
	s_cbranch_execz .LBB18_6
; %bb.3:
	v_mov_b64_e32 v[2:3], v[0:1]
	v_dual_mov_b32 v5, 0 :: v_dual_bitop2_b32 v8, -8, v7 bitop3:0x40
	v_lshl_add_u32 v9, v0, 2, 0
	s_mov_b32 s16, 0
	s_mov_b32 s17, 0
.LBB18_4:                               ; =>This Inner Loop Header: Depth=1
	s_delay_alu instid0(VALU_DEP_2) | instskip(NEXT) | instid1(VALU_DEP_4)
	v_dual_mov_b32 v4, v2 :: v_dual_mov_b32 v11, v5
	v_dual_mov_b32 v13, v5 :: v_dual_add_nc_u32 v10, 0xc0, v3
	v_dual_mov_b32 v15, v5 :: v_dual_add_nc_u32 v12, 0x180, v3
	s_delay_alu instid0(VALU_DEP_3) | instskip(SKIP_1) | instid1(VALU_DEP_4)
	v_lshl_add_u64 v[24:25], v[4:5], 2, s[0:1]
	v_mov_b32_e32 v4, v3
	v_lshl_add_u64 v[10:11], v[10:11], 2, s[0:1]
	s_delay_alu instid0(VALU_DEP_4) | instskip(SKIP_1) | instid1(VALU_DEP_4)
	v_lshl_add_u64 v[12:13], v[12:13], 2, s[0:1]
	v_dual_mov_b32 v17, v5 :: v_dual_add_nc_u32 v14, 0x240, v3
	v_lshl_add_u64 v[26:27], v[4:5], 2, s[0:1]
	v_add_nc_u32_e32 v4, 0xc0, v2
	global_load_b32 v1, v[24:25], off
	v_dual_mov_b32 v19, v5 :: v_dual_add_nc_u32 v16, 0x300, v3
	global_load_b32 v28, v[26:27], off
	s_wait_xcnt 0x1
	v_lshl_add_u64 v[24:25], v[4:5], 2, s[0:1]
	v_add_nc_u32_e32 v4, 0x180, v2
	s_clause 0x1
	global_load_b32 v29, v[24:25], off
	global_load_b32 v30, v[10:11], off
	s_wait_xcnt 0x2
	v_lshl_add_u64 v[26:27], v[4:5], 2, s[0:1]
	v_add_nc_u32_e32 v4, 0x240, v2
	v_lshl_add_u64 v[14:15], v[14:15], 2, s[0:1]
	v_dual_mov_b32 v21, v5 :: v_dual_add_nc_u32 v18, 0x3c0, v3
	global_load_b32 v26, v[26:27], off
	s_wait_xcnt 0x1
	v_lshl_add_u64 v[10:11], v[4:5], 2, s[0:1]
	v_add_nc_u32_e32 v4, 0x300, v2
	global_load_b32 v27, v[12:13], off
	v_dual_mov_b32 v23, v5 :: v_dual_add_nc_u32 v20, 0x480, v3
	s_clause 0x1
	global_load_b32 v31, v[10:11], off
	global_load_b32 v32, v[14:15], off
	v_lshl_add_u64 v[24:25], v[4:5], 2, s[0:1]
	v_add_nc_u32_e32 v4, 0x3c0, v2
	v_add_nc_u32_e32 v22, 0x540, v3
	v_lshl_add_u64 v[16:17], v[16:17], 2, s[0:1]
	v_lshl_add_u64 v[18:19], v[18:19], 2, s[0:1]
	;; [unrolled: 1-line block ×3, first 2 shown]
	s_wait_xcnt 0x2
	v_lshl_add_u64 v[12:13], v[4:5], 2, s[0:1]
	v_add_nc_u32_e32 v4, 0x480, v2
	s_clause 0x2
	global_load_b32 v14, v[24:25], off
	global_load_b32 v15, v[16:17], off
	;; [unrolled: 1-line block ×3, first 2 shown]
	v_lshl_add_u64 v[22:23], v[22:23], 2, s[0:1]
	v_add_nc_u32_e32 v8, -8, v8
	v_lshl_add_u64 v[10:11], v[4:5], 2, s[0:1]
	v_add_nc_u32_e32 v4, 0x540, v2
	s_add_co_i32 s17, s17, 16
	v_add_nc_u32_e32 v3, 0x600, v3
	v_cmp_eq_u32_e32 vcc_lo, 0, v8
	v_add_nc_u32_e32 v2, 0x600, v2
	s_wait_xcnt 0x0
	v_lshl_add_u64 v[12:13], v[4:5], 2, s[0:1]
	s_clause 0x4
	global_load_b32 v16, v[18:19], off
	global_load_b32 v17, v[10:11], off
	;; [unrolled: 1-line block ×5, first 2 shown]
	s_wait_xcnt 0x3
	v_add_nc_u32_e32 v10, 0x200, v9
	v_add_nc_u32_e32 v11, 0x400, v9
	s_wait_xcnt 0x1
	v_add_nc_u32_e32 v12, 0x800, v9
	v_dual_mov_b32 v4, s17 :: v_dual_add_nc_u32 v13, 0xc00, v9
	v_add_nc_u32_e32 v18, 0xe00, v9
	v_add_nc_u32_e32 v19, 0x1000, v9
	;; [unrolled: 1-line block ×3, first 2 shown]
	s_or_b32 s16, vcc_lo, s16
	s_wait_loadcnt 0xe
	ds_store_2addr_b32 v9, v1, v28 offset1:96
	v_add_nc_u32_e32 v9, 0x1800, v9
	s_wait_loadcnt 0xc
	ds_store_2addr_b32 v10, v29, v30 offset0:64 offset1:160
	s_wait_loadcnt 0xa
	ds_store_2addr_b32 v11, v26, v27 offset0:128 offset1:224
	s_wait_loadcnt 0x8
	ds_store_2addr_b32 v12, v31, v32 offset0:64 offset1:160
	s_wait_loadcnt 0x6
	ds_store_2addr_b32 v13, v14, v15 offset1:96
	s_wait_loadcnt 0x4
	ds_store_2addr_b32 v18, v33, v16 offset0:64 offset1:160
	s_wait_loadcnt 0x2
	ds_store_2addr_b32 v19, v17, v24 offset0:128 offset1:224
	;; [unrolled: 2-line block ×3, first 2 shown]
	s_wait_xcnt 0x0
	s_and_not1_b32 exec_lo, exec_lo, s16
	s_cbranch_execnz .LBB18_4
; %bb.5:
	s_or_b32 exec_lo, exec_lo, s16
.LBB18_6:
	s_delay_alu instid0(SALU_CYCLE_1) | instskip(SKIP_3) | instid1(VALU_DEP_1)
	s_or_b32 exec_lo, exec_lo, s15
	v_and_b32_e32 v1, 7, v7
	s_mov_b32 s16, 0
	s_mov_b32 s15, exec_lo
	v_cmpx_ne_u32_e32 0, v1
	s_cbranch_execz .LBB18_9
; %bb.7:
	v_mul_lo_u32 v4, 0x180, v4
	v_lshlrev_b32_e32 v5, 2, v0
	s_delay_alu instid0(VALU_DEP_1)
	v_add3_u32 v7, v4, v5, 0
	v_mov_b32_e32 v5, 0
.LBB18_8:                               ; =>This Inner Loop Header: Depth=1
	v_dual_mov_b32 v4, v2 :: v_dual_add_nc_u32 v1, -1, v1
	v_add_nc_u32_e32 v2, 0xc0, v2
	s_delay_alu instid0(VALU_DEP_2) | instskip(SKIP_1) | instid1(VALU_DEP_4)
	v_lshl_add_u64 v[8:9], v[4:5], 2, s[0:1]
	v_dual_mov_b32 v4, v3 :: v_dual_add_nc_u32 v3, 0xc0, v3
	v_cmp_eq_u32_e32 vcc_lo, 0, v1
	s_delay_alu instid0(VALU_DEP_2)
	v_lshl_add_u64 v[10:11], v[4:5], 2, s[0:1]
	s_clause 0x1
	global_load_b32 v4, v[8:9], off
	global_load_b32 v12, v[10:11], off
	s_or_b32 s16, vcc_lo, s16
	s_wait_loadcnt 0x0
	ds_store_2addr_b32 v7, v4, v12 offset1:96
	v_add_nc_u32_e32 v7, 0x300, v7
	s_and_not1_b32 exec_lo, exec_lo, s16
	s_cbranch_execnz .LBB18_8
.LBB18_9:
	s_or_b32 exec_lo, exec_lo, s15
	v_add_nc_u32_e32 v1, 1, v6
	s_delay_alu instid0(VALU_DEP_1) | instskip(NEXT) | instid1(VALU_DEP_1)
	v_and_b32_e32 v3, 0x7fffffe, v1
	v_mad_u32 v2, 0x60, v3, v0
	v_cmp_ne_u32_e32 vcc_lo, v1, v3
	s_or_not1_b32 s0, vcc_lo, exec_lo
.LBB18_10:
	s_or_b32 exec_lo, exec_lo, s14
	s_delay_alu instid0(SALU_CYCLE_1)
	s_and_b32 exec_lo, exec_lo, s0
	s_cbranch_execz .LBB18_13
; %bb.11:
	v_mov_b32_e32 v3, 0
	s_lshl_b64 s[0:1], s[2:3], 3
	s_delay_alu instid0(VALU_DEP_3)
	v_lshl_add_u32 v1, v2, 2, 0
	s_add_nc_u64 s[0:1], s[6:7], s[0:1]
	s_delay_alu instid0(VALU_DEP_2) | instid1(SALU_CYCLE_1)
	v_lshl_add_u64 v[4:5], v[2:3], 2, s[0:1]
	s_mov_b32 s0, 0
.LBB18_12:                              ; =>This Inner Loop Header: Depth=1
	global_load_b32 v3, v[4:5], off
	v_add_nc_u32_e32 v2, 0x60, v2
	s_wait_xcnt 0x0
	v_add_nc_u64_e32 v[4:5], 0x180, v[4:5]
	s_delay_alu instid0(VALU_DEP_2)
	v_cmp_le_i32_e32 vcc_lo, s12, v2
	s_or_b32 s0, vcc_lo, s0
	s_wait_loadcnt 0x0
	ds_store_b32 v1, v3
	v_add_nc_u32_e32 v1, 0x180, v1
	s_and_not1_b32 exec_lo, exec_lo, s0
	s_cbranch_execnz .LBB18_12
.LBB18_13:
	s_or_b32 exec_lo, exec_lo, s13
	v_mov_b32_e32 v1, 0
	s_wait_dscnt 0x0
	s_barrier_signal -1
	s_barrier_wait -1
	ds_load_b32 v1, v1
	s_cmp_lt_i32 s10, 2
	s_wait_dscnt 0x0
	v_readfirstlane_b32 s6, v1
	s_cbranch_scc1 .LBB18_21
; %bb.14:
	s_cmp_eq_u32 s10, 2
	s_cbranch_scc1 .LBB18_18
; %bb.15:
	v_dual_mov_b32 v3, s6 :: v_dual_mov_b32 v4, s6
	s_add_co_i32 s1, s10, -1
	s_add_co_i32 s7, 0, 8
	s_and_b32 s3, s1, -2
	s_mov_b32 s6, 2
.LBB18_16:                              ; =>This Inner Loop Header: Depth=1
	v_dual_mov_b32 v1, s7 :: v_dual_mov_b32 v2, v3
	s_cmp_lg_u32 s3, s6
	s_cselect_b32 s12, -1, 0
	ds_load_2addr_b32 v[6:7], v1 offset1:2
	v_dual_mov_b32 v1, v4 :: v_dual_max_num_f32 v5, v2, v2
	s_delay_alu instid0(VALU_DEP_1)
	v_max_num_f32_e32 v3, v1, v1
	s_wait_dscnt 0x0
	v_cmp_u_f32_e32 vcc_lo, v7, v7
	v_max_num_f32_e32 v7, v7, v7
	v_cndmask_b32_e64 v4, 0, 1, vcc_lo
	v_cmp_u_f32_e32 vcc_lo, v6, v6
	v_max_num_f32_e32 v6, v6, v6
	s_delay_alu instid0(VALU_DEP_3) | instskip(SKIP_1) | instid1(VALU_DEP_3)
	v_readfirstlane_b32 s0, v4
	v_cndmask_b32_e64 v8, 0, 1, vcc_lo
	v_dual_max_num_f32 v4, v3, v7 :: v_dual_max_num_f32 v3, v5, v6
	s_lshl_b32 s0, s0, 1
	s_delay_alu instid0(VALU_DEP_2) | instskip(SKIP_1) | instid1(SALU_CYCLE_1)
	v_readfirstlane_b32 s13, v8
	s_or_b32 s0, s13, s0
	s_and_b32 s13, s0, 3
	s_delay_alu instid0(SALU_CYCLE_1)
	s_cmp_lg_u32 s13, 0
	s_cselect_b32 s0, -1, 0
	s_cmp_eq_u32 s13, 0
	s_cselect_b32 s13, -1, 0
	s_add_co_i32 s6, s6, 2
	s_and_b32 s12, s13, s12
	s_add_co_i32 s7, s7, 16
	s_and_b32 vcc_lo, exec_lo, s12
	s_cbranch_vccnz .LBB18_16
; %bb.17:
	v_dual_cndmask_b32 v2, v3, v2, s0 :: v_dual_cndmask_b32 v1, v4, v1, s0
	s_add_co_i32 s6, s6, -4
	s_and_b32 s7, s0, exec_lo
	s_cselect_b32 s6, s6, s1
	s_delay_alu instid0(VALU_DEP_1) | instskip(SKIP_3) | instid1(VALU_DEP_1)
	v_dual_max_num_f32 v2, v2, v2 :: v_dual_max_num_f32 v1, v1, v1
	s_or_b32 s7, s6, 1
	s_cmp_lg_u32 s1, s3
	s_cselect_b32 s1, -1, 0
	v_readfirstlane_b32 s12, v2
	v_readfirstlane_b32 s13, v1
	s_or_b32 s0, s1, s0
	s_max_num_f32 s6, s12, s13
	s_and_b32 vcc_lo, exec_lo, s0
	s_cbranch_vccnz .LBB18_19
	s_branch .LBB18_21
.LBB18_18:
	s_mov_b32 s7, 1
	s_cbranch_execz .LBB18_21
.LBB18_19:
	s_lshl_b32 s1, s7, 3
	s_sub_co_i32 s0, s10, s7
	s_add_co_i32 s1, s1, 0
.LBB18_20:                              ; =>This Inner Loop Header: Depth=1
	s_delay_alu instid0(SALU_CYCLE_1) | instskip(NEXT) | instid1(SALU_CYCLE_1)
	v_mov_b32_e32 v1, s1
	v_max_num_f32_e64 v2, s6, s6
	s_add_co_i32 s0, s0, -1
	s_add_co_i32 s1, s1, 8
	s_cmp_eq_u32 s0, 0
	ds_load_b32 v1, v1
	v_readfirstlane_b32 s3, v2
	s_wait_dscnt 0x0
	v_max_num_f32_e32 v1, v1, v1
	s_delay_alu instid0(VALU_DEP_1)
	v_readfirstlane_b32 s6, v1
	s_max_num_f32 s6, s3, s6
	s_cbranch_scc0 .LBB18_20
.LBB18_21:
	s_cmp_lt_i32 s10, 1
	s_cbranch_scc1 .LBB18_26
; %bb.22:
	s_mul_i32 s0, s2, 0x60
	s_delay_alu instid0(SALU_CYCLE_1)
	s_ashr_i32 s1, s0, 31
	s_cmp_lt_u32 s10, 8
	s_cbranch_scc1 .LBB18_27
; %bb.23:
	v_dual_mov_b32 v3, 0 :: v_dual_lshlrev_b32 v2, 2, v0
	s_lshl_b64 s[2:3], s[0:1], 2
	v_add_nc_u32_e32 v1, 0x2a0, v0
	s_add_nc_u64 s[2:3], s[4:5], s[2:3]
	s_and_b32 s7, s10, 0x7ffffff8
	v_add_nc_u64_e32 v[4:5], s[2:3], v[2:3]
	v_mov_b32_e32 v2, v3
	s_mov_b32 s12, 0
	s_mov_b32 s13, 0
	s_delay_alu instid0(VALU_DEP_2)
	v_add_nc_u64_e32 v[4:5], 0x180, v[4:5]
.LBB18_24:                              ; =>This Inner Loop Header: Depth=1
	v_add_nc_u32_e32 v6, 0xfffffd60, v1
	v_dual_mov_b32 v18, s13 :: v_dual_add_nc_u32 v7, 0xfffffe80, v1
	global_load_b32 v23, v6, s[2:3] scale_offset
	global_load_b32 v25, v[4:5], off
	s_wait_xcnt 0x1
	v_add_nc_u32_e32 v6, 0xfffffe20, v1
	s_wait_xcnt 0x0
	v_add_nc_u64_e32 v[4:5], 0xc00, v[4:5]
	global_load_b32 v29, v7, s[2:3] scale_offset
	s_wait_xcnt 0x0
	v_add_nc_u32_e32 v7, 0xffffff40, v1
	global_load_b32 v27, v6, s[2:3] scale_offset
	s_wait_xcnt 0x0
	v_add_nc_u32_e32 v6, 0xfffffee0, v1
	;; [unrolled: 3-line block ×3, first 2 shown]
	s_clause 0x2
	global_load_b32 v33, v7, s[2:3] scale_offset
	global_load_b32 v35, v6, s[2:3] scale_offset
	;; [unrolled: 1-line block ×3, first 2 shown]
	s_wait_xcnt 0x1
	ds_load_2addr_b64 v[6:9], v18 offset1:1
	ds_load_2addr_b64 v[10:13], v18 offset0:2 offset1:3
	ds_load_2addr_b64 v[14:17], v18 offset0:4 offset1:5
	;; [unrolled: 1-line block ×3, first 2 shown]
	s_wait_xcnt 0x0
	v_add_nc_u32_e32 v1, 0x300, v1
	s_wait_dscnt 0x3
	v_readfirstlane_b32 s14, v6
	v_readfirstlane_b32 s15, v8
	s_wait_dscnt 0x2
	v_readfirstlane_b32 s16, v10
	v_dual_mov_b32 v22, v7 :: v_dual_mov_b32 v26, v11
	s_sub_f32 s14, s14, s6
	s_sub_f32 s15, s15, s6
	;; [unrolled: 1-line block ×3, first 2 shown]
	v_readfirstlane_b32 s17, v12
	s_mul_f32 s22, s14, 0x3fb8aa3b
	s_mul_f32 s23, s15, 0x3fb8aa3b
	;; [unrolled: 1-line block ×3, first 2 shown]
	s_wait_dscnt 0x1
	v_readfirstlane_b32 s18, v14
	s_xor_b32 s30, s22, 0x80000000
	s_rndne_f32 s31, s22
	s_fmamk_f32 s30, s14, 0x3fb8aa3b, s30
	s_cmp_nlt_f32 s14, 0xc2ce8ed0
	s_rndne_f32 s33, s23
	s_sub_f32 s22, s22, s31
	s_fmamk_f32 s30, s14, 0x32a5705f, s30
	s_cvt_i32_f32 s31, s31
	s_cselect_b32 vcc_lo, -1, 0
	s_cmp_ngt_f32 s14, 0x42b17218
	s_add_f32 s22, s22, s30
	s_sub_f32 s40, s23, s33
	s_cvt_i32_f32 s33, s33
	s_rndne_f32 s34, s24
	v_s_exp_f32 s22, s22
	s_sub_f32 s17, s17, s6
	s_sub_f32 s18, s18, s6
	;; [unrolled: 1-line block ×3, first 2 shown]
	s_cvt_i32_f32 s34, s34
	s_mul_f32 s25, s17, 0x3fb8aa3b
	s_mul_f32 s26, s18, 0x3fb8aa3b
	v_readfirstlane_b32 s19, v16
	v_ldexp_f32 v6, s22, s31
	s_rndne_f32 s35, s25
	s_rndne_f32 s36, s26
	s_wait_dscnt 0x0
	v_readfirstlane_b32 s20, v18
	s_sub_f32 s19, s19, s6
	v_cndmask_b32_e32 v6, 0, v6, vcc_lo
	s_cselect_b32 vcc_lo, -1, 0
	s_xor_b32 s14, s23, 0x80000000
	s_cmp_nlt_f32 s15, 0xc2ce8ed0
	s_fmamk_f32 s14, s15, 0x3fb8aa3b, s14
	v_cndmask_b32_e32 v6, 0x7f800000, v6, vcc_lo
	s_sub_f32 s42, s25, s35
	s_cselect_b32 vcc_lo, -1, 0
	s_fmamk_f32 s14, s15, 0x32a5705f, s14
	s_cmp_ngt_f32 s15, 0x42b17218
	s_cvt_i32_f32 s35, s35
	s_sub_f32 s43, s26, s36
	s_add_f32 s14, s40, s14
	s_cvt_i32_f32 s36, s36
	s_mul_f32 s27, s19, 0x3fb8aa3b
	s_sub_f32 s20, s20, s6
	v_s_exp_f32 s14, s14
	v_readfirstlane_b32 s21, v20
	s_rndne_f32 s37, s27
	s_mul_f32 s28, s20, 0x3fb8aa3b
	v_dual_mov_b32 v24, v9 :: v_dual_mov_b32 v28, v13
	v_mov_b32_e32 v30, v15
	s_sub_f32 s44, s27, s37
	s_delay_alu instid0(TRANS32_DEP_1)
	v_ldexp_f32 v7, s14, s33
	s_cvt_i32_f32 s37, s37
	s_rndne_f32 s38, s28
	s_sub_f32 s21, s21, s6
	v_dual_mov_b32 v32, v17 :: v_dual_mov_b32 v34, v19
	v_cndmask_b32_e32 v7, 0, v7, vcc_lo
	s_cselect_b32 vcc_lo, -1, 0
	s_xor_b32 s14, s24, 0x80000000
	s_cmp_nlt_f32 s16, 0xc2ce8ed0
	s_fmamk_f32 s14, s16, 0x3fb8aa3b, s14
	v_cndmask_b32_e32 v8, 0x7f800000, v7, vcc_lo
	s_sub_f32 s45, s28, s38
	s_cselect_b32 vcc_lo, -1, 0
	s_fmamk_f32 s14, s16, 0x32a5705f, s14
	s_cmp_ngt_f32 s16, 0x42b17218
	s_cvt_i32_f32 s38, s38
	s_mul_f32 s29, s21, 0x3fb8aa3b
	s_add_f32 s14, s41, s14
	v_mov_b32_e32 v36, v21
	s_delay_alu instid0(SALU_CYCLE_1) | instskip(NEXT) | instid1(SALU_CYCLE_1)
	s_rndne_f32 s39, s29
	v_s_exp_f32 s14, s14
	s_delay_alu instid0(SALU_CYCLE_2) | instskip(SKIP_2) | instid1(TRANS32_DEP_1)
	s_sub_f32 s46, s29, s39
	s_cvt_i32_f32 s39, s39
	v_nop
	v_ldexp_f32 v7, s14, s34
	s_delay_alu instid0(VALU_DEP_1)
	v_cndmask_b32_e32 v7, 0, v7, vcc_lo
	s_cselect_b32 vcc_lo, -1, 0
	s_xor_b32 s14, s25, 0x80000000
	s_cmp_nlt_f32 s17, 0xc2ce8ed0
	s_fmamk_f32 s14, s17, 0x3fb8aa3b, s14
	v_cndmask_b32_e32 v10, 0x7f800000, v7, vcc_lo
	s_cselect_b32 vcc_lo, -1, 0
	s_delay_alu instid0(SALU_CYCLE_1) | instskip(SKIP_1) | instid1(SALU_CYCLE_2)
	s_fmamk_f32 s14, s17, 0x32a5705f, s14
	s_cmp_ngt_f32 s17, 0x42b17218
	s_add_f32 s14, s42, s14
	s_delay_alu instid0(SALU_CYCLE_3) | instskip(SKIP_1) | instid1(TRANS32_DEP_1)
	v_s_exp_f32 s14, s14
	v_nop
	v_ldexp_f32 v7, s14, s35
	s_delay_alu instid0(VALU_DEP_1)
	v_cndmask_b32_e32 v7, 0, v7, vcc_lo
	s_cselect_b32 vcc_lo, -1, 0
	s_xor_b32 s14, s26, 0x80000000
	s_cmp_nlt_f32 s18, 0xc2ce8ed0
	s_fmamk_f32 s14, s18, 0x3fb8aa3b, s14
	v_cndmask_b32_e32 v12, 0x7f800000, v7, vcc_lo
	s_cselect_b32 vcc_lo, -1, 0
	s_delay_alu instid0(SALU_CYCLE_1) | instskip(SKIP_1) | instid1(SALU_CYCLE_2)
	s_fmamk_f32 s14, s18, 0x32a5705f, s14
	s_cmp_ngt_f32 s18, 0x42b17218
	s_add_f32 s14, s43, s14
	s_delay_alu instid0(SALU_CYCLE_3) | instskip(SKIP_1) | instid1(TRANS32_DEP_1)
	v_s_exp_f32 s14, s14
	;; [unrolled: 16-line block ×4, first 2 shown]
	v_nop
	v_ldexp_f32 v7, s14, s38
	s_delay_alu instid0(VALU_DEP_1) | instskip(SKIP_4) | instid1(SALU_CYCLE_3)
	v_cndmask_b32_e32 v7, 0, v7, vcc_lo
	s_cselect_b32 vcc_lo, -1, 0
	s_xor_b32 s14, s29, 0x80000000
	s_cmp_nlt_f32 s21, 0xc2ce8ed0
	s_fmamk_f32 s14, s21, 0x3fb8aa3b, s14
	s_fmamk_f32 s14, s21, 0x32a5705f, s14
	s_delay_alu instid0(SALU_CYCLE_3) | instskip(NEXT) | instid1(SALU_CYCLE_3)
	s_add_f32 s14, s46, s14
	v_s_exp_f32 s14, s14
	s_wait_loadcnt 0x7
	v_pk_fma_f32 v[2:3], v[6:7], v[22:23], v[2:3] op_sel_hi:[0,1,1]
	v_cndmask_b32_e32 v6, 0x7f800000, v7, vcc_lo
	s_delay_alu instid0(TRANS32_DEP_1)
	v_ldexp_f32 v7, s14, s39
	s_cselect_b32 vcc_lo, -1, 0
	s_cmp_ngt_f32 s21, 0x42b17218
	s_wait_loadcnt 0x6
	v_pk_fma_f32 v[2:3], v[8:9], v[24:25], v[2:3] op_sel_hi:[0,1,1]
	v_cndmask_b32_e32 v7, 0, v7, vcc_lo
	s_cselect_b32 vcc_lo, -1, 0
	s_add_co_i32 s12, s12, 8
	s_wait_loadcnt 0x4
	v_pk_fma_f32 v[2:3], v[10:11], v[26:27], v[2:3] op_sel_hi:[0,1,1]
	s_add_co_i32 s13, s13, 64
	v_cndmask_b32_e32 v8, 0x7f800000, v7, vcc_lo
	s_cmp_eq_u32 s7, s12
	s_delay_alu instid0(VALU_DEP_2) | instskip(SKIP_1) | instid1(VALU_DEP_1)
	v_pk_fma_f32 v[2:3], v[12:13], v[28:29], v[2:3] op_sel_hi:[0,1,1]
	s_wait_loadcnt 0x3
	v_pk_fma_f32 v[2:3], v[14:15], v[30:31], v[2:3] op_sel_hi:[0,1,1]
	s_wait_loadcnt 0x2
	s_delay_alu instid0(VALU_DEP_1) | instskip(SKIP_1) | instid1(VALU_DEP_1)
	v_pk_fma_f32 v[2:3], v[16:17], v[32:33], v[2:3] op_sel_hi:[0,1,1]
	s_wait_loadcnt 0x1
	v_pk_fma_f32 v[2:3], v[6:7], v[34:35], v[2:3] op_sel_hi:[0,1,1]
	s_wait_loadcnt 0x0
	s_delay_alu instid0(VALU_DEP_1)
	v_pk_fma_f32 v[2:3], v[8:9], v[36:37], v[2:3] op_sel_hi:[0,1,1]
	s_cbranch_scc0 .LBB18_24
; %bb.25:
	s_and_b32 s2, s10, 7
	s_delay_alu instid0(SALU_CYCLE_1)
	s_cmp_eq_u32 s2, 0
	s_cbranch_scc0 .LBB18_28
	s_branch .LBB18_30
.LBB18_26:
	v_mov_b32_e32 v1, 0x7fc00000
	s_branch .LBB18_31
.LBB18_27:
	v_mov_b64_e32 v[2:3], 0
	s_mov_b32 s7, 0
	s_and_b32 s2, s10, 7
	s_delay_alu instid0(SALU_CYCLE_1)
	s_cmp_eq_u32 s2, 0
	s_cbranch_scc1 .LBB18_30
.LBB18_28:
	v_mad_u32 v4, 0x60, s7, v0
	v_mov_b32_e32 v5, 0
	s_lshl_b64 s[0:1], s[0:1], 2
	s_delay_alu instid0(SALU_CYCLE_1)
	s_add_nc_u64 s[0:1], s[4:5], s[0:1]
	s_delay_alu instid0(VALU_DEP_1) | instid1(SALU_CYCLE_1)
	v_lshl_add_u64 v[4:5], v[4:5], 2, s[0:1]
	s_lshl_b32 s0, s7, 3
	s_delay_alu instid0(SALU_CYCLE_1)
	s_add_co_i32 s0, s0, 0
.LBB18_29:                              ; =>This Inner Loop Header: Depth=1
	global_load_b32 v7, v[4:5], off
	v_mov_b32_e32 v1, s0
	s_wait_xcnt 0x0
	v_add_nc_u64_e32 v[4:5], 0x180, v[4:5]
	ds_load_b64 v[8:9], v1
	s_wait_dscnt 0x0
	v_readfirstlane_b32 s1, v8
	v_mov_b32_e32 v6, v9
	s_sub_f32 s1, s1, s6
	s_delay_alu instid0(SALU_CYCLE_3) | instskip(NEXT) | instid1(SALU_CYCLE_3)
	s_mul_f32 s3, s1, 0x3fb8aa3b
	s_xor_b32 s4, s3, 0x80000000
	s_rndne_f32 s5, s3
	s_fmamk_f32 s4, s1, 0x3fb8aa3b, s4
	s_cmp_nlt_f32 s1, 0xc2ce8ed0
	s_delay_alu instid0(SALU_CYCLE_1) | instskip(NEXT) | instid1(SALU_CYCLE_1)
	s_sub_f32 s3, s3, s5
	s_fmamk_f32 s4, s1, 0x32a5705f, s4
	s_cselect_b32 vcc_lo, -1, 0
	s_cmp_ngt_f32 s1, 0x42b17218
	s_delay_alu instid0(SALU_CYCLE_1) | instskip(SKIP_1) | instid1(SALU_CYCLE_2)
	s_add_f32 s3, s3, s4
	s_cvt_i32_f32 s4, s5
	v_s_exp_f32 s3, s3
	v_nop
	s_delay_alu instid0(TRANS32_DEP_1) | instid1(SALU_CYCLE_1)
	v_ldexp_f32 v1, s3, s4
	s_delay_alu instid0(VALU_DEP_1)
	v_cndmask_b32_e32 v1, 0, v1, vcc_lo
	s_cselect_b32 vcc_lo, -1, 0
	s_add_co_i32 s2, s2, -1
	s_add_co_i32 s0, s0, 8
	s_cmp_lg_u32 s2, 0
	v_cndmask_b32_e32 v8, 0x7f800000, v1, vcc_lo
	s_wait_loadcnt 0x0
	s_delay_alu instid0(VALU_DEP_1)
	v_pk_fma_f32 v[2:3], v[8:9], v[6:7], v[2:3] op_sel_hi:[0,1,1]
	s_cbranch_scc1 .LBB18_29
.LBB18_30:
	s_delay_alu instid0(VALU_DEP_1) | instskip(NEXT) | instid1(VALU_DEP_1)
	v_div_scale_f32 v1, null, v2, v2, v3
	v_rcp_f32_e32 v4, v1
	v_nop
	s_delay_alu instid0(TRANS32_DEP_1) | instskip(NEXT) | instid1(VALU_DEP_1)
	v_fma_f32 v5, -v1, v4, 1.0
	v_fmac_f32_e32 v4, v5, v4
	v_div_scale_f32 v5, vcc_lo, v3, v2, v3
	s_delay_alu instid0(VALU_DEP_1) | instskip(NEXT) | instid1(VALU_DEP_1)
	v_mul_f32_e32 v6, v5, v4
	v_fma_f32 v7, -v1, v6, v5
	s_delay_alu instid0(VALU_DEP_1) | instskip(NEXT) | instid1(VALU_DEP_1)
	v_fmac_f32_e32 v6, v7, v4
	v_fma_f32 v1, -v1, v6, v5
	s_delay_alu instid0(VALU_DEP_1) | instskip(NEXT) | instid1(VALU_DEP_1)
	v_div_fmas_f32 v1, v1, v4, v6
	v_div_fixup_f32 v1, v1, v2, v3
.LBB18_31:
	s_mul_i32 s0, s11, 0x60
	s_delay_alu instid0(SALU_CYCLE_1) | instskip(NEXT) | instid1(SALU_CYCLE_1)
	s_ashr_i32 s1, s0, 31
	s_lshl_b64 s[0:1], s[0:1], 2
	s_delay_alu instid0(SALU_CYCLE_1)
	s_add_nc_u64 s[0:1], s[8:9], s[0:1]
	global_store_b32 v0, v1, s[0:1] scale_offset
	s_endpgm
	.section	.rodata,"a",@progbits
	.p2align	6, 0x0
	.amdhsa_kernel _ZL26flash_attn_combine_resultsILi96EEvPKfPK15HIP_vector_typeIfLj2EEPfi
		.amdhsa_group_segment_fixed_size 0
		.amdhsa_private_segment_fixed_size 0
		.amdhsa_kernarg_size 288
		.amdhsa_user_sgpr_count 2
		.amdhsa_user_sgpr_dispatch_ptr 0
		.amdhsa_user_sgpr_queue_ptr 0
		.amdhsa_user_sgpr_kernarg_segment_ptr 1
		.amdhsa_user_sgpr_dispatch_id 0
		.amdhsa_user_sgpr_kernarg_preload_length 0
		.amdhsa_user_sgpr_kernarg_preload_offset 0
		.amdhsa_user_sgpr_private_segment_size 0
		.amdhsa_wavefront_size32 1
		.amdhsa_uses_dynamic_stack 0
		.amdhsa_enable_private_segment 0
		.amdhsa_system_sgpr_workgroup_id_x 1
		.amdhsa_system_sgpr_workgroup_id_y 1
		.amdhsa_system_sgpr_workgroup_id_z 1
		.amdhsa_system_sgpr_workgroup_info 0
		.amdhsa_system_vgpr_workitem_id 0
		.amdhsa_next_free_vgpr 38
		.amdhsa_next_free_sgpr 47
		.amdhsa_named_barrier_count 0
		.amdhsa_reserve_vcc 1
		.amdhsa_float_round_mode_32 0
		.amdhsa_float_round_mode_16_64 0
		.amdhsa_float_denorm_mode_32 3
		.amdhsa_float_denorm_mode_16_64 3
		.amdhsa_fp16_overflow 0
		.amdhsa_memory_ordered 1
		.amdhsa_forward_progress 1
		.amdhsa_inst_pref_size 30
		.amdhsa_round_robin_scheduling 0
		.amdhsa_exception_fp_ieee_invalid_op 0
		.amdhsa_exception_fp_denorm_src 0
		.amdhsa_exception_fp_ieee_div_zero 0
		.amdhsa_exception_fp_ieee_overflow 0
		.amdhsa_exception_fp_ieee_underflow 0
		.amdhsa_exception_fp_ieee_inexact 0
		.amdhsa_exception_int_div_zero 0
	.end_amdhsa_kernel
	.section	.text._ZL26flash_attn_combine_resultsILi96EEvPKfPK15HIP_vector_typeIfLj2EEPfi,"axG",@progbits,_ZL26flash_attn_combine_resultsILi96EEvPKfPK15HIP_vector_typeIfLj2EEPfi,comdat
.Lfunc_end18:
	.size	_ZL26flash_attn_combine_resultsILi96EEvPKfPK15HIP_vector_typeIfLj2EEPfi, .Lfunc_end18-_ZL26flash_attn_combine_resultsILi96EEvPKfPK15HIP_vector_typeIfLj2EEPfi
                                        ; -- End function
	.set _ZL26flash_attn_combine_resultsILi96EEvPKfPK15HIP_vector_typeIfLj2EEPfi.num_vgpr, 38
	.set _ZL26flash_attn_combine_resultsILi96EEvPKfPK15HIP_vector_typeIfLj2EEPfi.num_agpr, 0
	.set _ZL26flash_attn_combine_resultsILi96EEvPKfPK15HIP_vector_typeIfLj2EEPfi.numbered_sgpr, 47
	.set _ZL26flash_attn_combine_resultsILi96EEvPKfPK15HIP_vector_typeIfLj2EEPfi.num_named_barrier, 0
	.set _ZL26flash_attn_combine_resultsILi96EEvPKfPK15HIP_vector_typeIfLj2EEPfi.private_seg_size, 0
	.set _ZL26flash_attn_combine_resultsILi96EEvPKfPK15HIP_vector_typeIfLj2EEPfi.uses_vcc, 1
	.set _ZL26flash_attn_combine_resultsILi96EEvPKfPK15HIP_vector_typeIfLj2EEPfi.uses_flat_scratch, 0
	.set _ZL26flash_attn_combine_resultsILi96EEvPKfPK15HIP_vector_typeIfLj2EEPfi.has_dyn_sized_stack, 0
	.set _ZL26flash_attn_combine_resultsILi96EEvPKfPK15HIP_vector_typeIfLj2EEPfi.has_recursion, 0
	.set _ZL26flash_attn_combine_resultsILi96EEvPKfPK15HIP_vector_typeIfLj2EEPfi.has_indirect_call, 0
	.section	.AMDGPU.csdata,"",@progbits
; Kernel info:
; codeLenInByte = 3720
; TotalNumSgprs: 49
; NumVgprs: 38
; ScratchSize: 0
; MemoryBound: 0
; FloatMode: 240
; IeeeMode: 1
; LDSByteSize: 0 bytes/workgroup (compile time only)
; SGPRBlocks: 0
; VGPRBlocks: 2
; NumSGPRsForWavesPerEU: 49
; NumVGPRsForWavesPerEU: 38
; NamedBarCnt: 0
; Occupancy: 16
; WaveLimiterHint : 0
; COMPUTE_PGM_RSRC2:SCRATCH_EN: 0
; COMPUTE_PGM_RSRC2:USER_SGPR: 2
; COMPUTE_PGM_RSRC2:TRAP_HANDLER: 0
; COMPUTE_PGM_RSRC2:TGID_X_EN: 1
; COMPUTE_PGM_RSRC2:TGID_Y_EN: 1
; COMPUTE_PGM_RSRC2:TGID_Z_EN: 1
; COMPUTE_PGM_RSRC2:TIDIG_COMP_CNT: 0
	.section	.text._ZL18flash_attn_ext_f16ILi112ELi112ELi32ELi1ELb0ELb0EEvPKcS1_S1_S1_S1_PKiPfP15HIP_vector_typeIfLj2EEffffjfiS5_IjLj3EEiiiiiiiiiiiliiliiiiil,"axG",@progbits,_ZL18flash_attn_ext_f16ILi112ELi112ELi32ELi1ELb0ELb0EEvPKcS1_S1_S1_S1_PKiPfP15HIP_vector_typeIfLj2EEffffjfiS5_IjLj3EEiiiiiiiiiiiliiliiiiil,comdat
	.globl	_ZL18flash_attn_ext_f16ILi112ELi112ELi32ELi1ELb0ELb0EEvPKcS1_S1_S1_S1_PKiPfP15HIP_vector_typeIfLj2EEffffjfiS5_IjLj3EEiiiiiiiiiiiliiliiiiil ; -- Begin function _ZL18flash_attn_ext_f16ILi112ELi112ELi32ELi1ELb0ELb0EEvPKcS1_S1_S1_S1_PKiPfP15HIP_vector_typeIfLj2EEffffjfiS5_IjLj3EEiiiiiiiiiiiliiliiiiil
	.p2align	8
	.type	_ZL18flash_attn_ext_f16ILi112ELi112ELi32ELi1ELb0ELb0EEvPKcS1_S1_S1_S1_PKiPfP15HIP_vector_typeIfLj2EEffffjfiS5_IjLj3EEiiiiiiiiiiiliiliiiiil,@function
_ZL18flash_attn_ext_f16ILi112ELi112ELi32ELi1ELb0ELb0EEvPKcS1_S1_S1_S1_PKiPfP15HIP_vector_typeIfLj2EEffffjfiS5_IjLj3EEiiiiiiiiiiiliiliiiiil: ; @_ZL18flash_attn_ext_f16ILi112ELi112ELi32ELi1ELb0ELb0EEvPKcS1_S1_S1_S1_PKiPfP15HIP_vector_typeIfLj2EEffffjfiS5_IjLj3EEiiiiiiiiiiiliiliiiiil
; %bb.0:
	v_mov_b32_e32 v0, 0x6e3
	s_add_nc_u64 s[8:9], s[0:1], 0xd0
	s_get_pc_i64 s[0:1]
	s_add_nc_u64 s[0:1], s[0:1], _ZL14no_device_codePKciS0_iS0_@rel64+4
	s_mov_b32 s32, 0
	s_swap_pc_i64 s[30:31], s[0:1]
	.section	.rodata,"a",@progbits
	.p2align	6, 0x0
	.amdhsa_kernel _ZL18flash_attn_ext_f16ILi112ELi112ELi32ELi1ELb0ELb0EEvPKcS1_S1_S1_S1_PKiPfP15HIP_vector_typeIfLj2EEffffjfiS5_IjLj3EEiiiiiiiiiiiliiliiiiil
		.amdhsa_group_segment_fixed_size 0
		.amdhsa_private_segment_fixed_size 16
		.amdhsa_kernarg_size 464
		.amdhsa_user_sgpr_count 2
		.amdhsa_user_sgpr_dispatch_ptr 0
		.amdhsa_user_sgpr_queue_ptr 0
		.amdhsa_user_sgpr_kernarg_segment_ptr 1
		.amdhsa_user_sgpr_dispatch_id 0
		.amdhsa_user_sgpr_kernarg_preload_length 0
		.amdhsa_user_sgpr_kernarg_preload_offset 0
		.amdhsa_user_sgpr_private_segment_size 0
		.amdhsa_wavefront_size32 1
		.amdhsa_uses_dynamic_stack 0
		.amdhsa_enable_private_segment 1
		.amdhsa_system_sgpr_workgroup_id_x 1
		.amdhsa_system_sgpr_workgroup_id_y 0
		.amdhsa_system_sgpr_workgroup_id_z 0
		.amdhsa_system_sgpr_workgroup_info 0
		.amdhsa_system_vgpr_workitem_id 0
		.amdhsa_next_free_vgpr 50
		.amdhsa_next_free_sgpr 34
		.amdhsa_named_barrier_count 0
		.amdhsa_reserve_vcc 1
		.amdhsa_float_round_mode_32 0
		.amdhsa_float_round_mode_16_64 0
		.amdhsa_float_denorm_mode_32 3
		.amdhsa_float_denorm_mode_16_64 3
		.amdhsa_fp16_overflow 0
		.amdhsa_memory_ordered 1
		.amdhsa_forward_progress 1
		.amdhsa_inst_pref_size 1
		.amdhsa_round_robin_scheduling 0
		.amdhsa_exception_fp_ieee_invalid_op 0
		.amdhsa_exception_fp_denorm_src 0
		.amdhsa_exception_fp_ieee_div_zero 0
		.amdhsa_exception_fp_ieee_overflow 0
		.amdhsa_exception_fp_ieee_underflow 0
		.amdhsa_exception_fp_ieee_inexact 0
		.amdhsa_exception_int_div_zero 0
	.end_amdhsa_kernel
	.section	.text._ZL18flash_attn_ext_f16ILi112ELi112ELi32ELi1ELb0ELb0EEvPKcS1_S1_S1_S1_PKiPfP15HIP_vector_typeIfLj2EEffffjfiS5_IjLj3EEiiiiiiiiiiiliiliiiiil,"axG",@progbits,_ZL18flash_attn_ext_f16ILi112ELi112ELi32ELi1ELb0ELb0EEvPKcS1_S1_S1_S1_PKiPfP15HIP_vector_typeIfLj2EEffffjfiS5_IjLj3EEiiiiiiiiiiiliiliiiiil,comdat
.Lfunc_end19:
	.size	_ZL18flash_attn_ext_f16ILi112ELi112ELi32ELi1ELb0ELb0EEvPKcS1_S1_S1_S1_PKiPfP15HIP_vector_typeIfLj2EEffffjfiS5_IjLj3EEiiiiiiiiiiiliiliiiiil, .Lfunc_end19-_ZL18flash_attn_ext_f16ILi112ELi112ELi32ELi1ELb0ELb0EEvPKcS1_S1_S1_S1_PKiPfP15HIP_vector_typeIfLj2EEffffjfiS5_IjLj3EEiiiiiiiiiiiliiliiiiil
                                        ; -- End function
	.set _ZL18flash_attn_ext_f16ILi112ELi112ELi32ELi1ELb0ELb0EEvPKcS1_S1_S1_S1_PKiPfP15HIP_vector_typeIfLj2EEffffjfiS5_IjLj3EEiiiiiiiiiiiliiliiiiil.num_vgpr, max(1, .L_ZL14no_device_codePKciS0_iS0_.num_vgpr)
	.set _ZL18flash_attn_ext_f16ILi112ELi112ELi32ELi1ELb0ELb0EEvPKcS1_S1_S1_S1_PKiPfP15HIP_vector_typeIfLj2EEffffjfiS5_IjLj3EEiiiiiiiiiiiliiliiiiil.num_agpr, max(0, .L_ZL14no_device_codePKciS0_iS0_.num_agpr)
	.set _ZL18flash_attn_ext_f16ILi112ELi112ELi32ELi1ELb0ELb0EEvPKcS1_S1_S1_S1_PKiPfP15HIP_vector_typeIfLj2EEffffjfiS5_IjLj3EEiiiiiiiiiiiliiliiiiil.numbered_sgpr, max(33, .L_ZL14no_device_codePKciS0_iS0_.numbered_sgpr)
	.set _ZL18flash_attn_ext_f16ILi112ELi112ELi32ELi1ELb0ELb0EEvPKcS1_S1_S1_S1_PKiPfP15HIP_vector_typeIfLj2EEffffjfiS5_IjLj3EEiiiiiiiiiiiliiliiiiil.num_named_barrier, max(0, .L_ZL14no_device_codePKciS0_iS0_.num_named_barrier)
	.set _ZL18flash_attn_ext_f16ILi112ELi112ELi32ELi1ELb0ELb0EEvPKcS1_S1_S1_S1_PKiPfP15HIP_vector_typeIfLj2EEffffjfiS5_IjLj3EEiiiiiiiiiiiliiliiiiil.private_seg_size, 0+max(.L_ZL14no_device_codePKciS0_iS0_.private_seg_size)
	.set _ZL18flash_attn_ext_f16ILi112ELi112ELi32ELi1ELb0ELb0EEvPKcS1_S1_S1_S1_PKiPfP15HIP_vector_typeIfLj2EEffffjfiS5_IjLj3EEiiiiiiiiiiiliiliiiiil.uses_vcc, or(1, .L_ZL14no_device_codePKciS0_iS0_.uses_vcc)
	.set _ZL18flash_attn_ext_f16ILi112ELi112ELi32ELi1ELb0ELb0EEvPKcS1_S1_S1_S1_PKiPfP15HIP_vector_typeIfLj2EEffffjfiS5_IjLj3EEiiiiiiiiiiiliiliiiiil.uses_flat_scratch, or(0, .L_ZL14no_device_codePKciS0_iS0_.uses_flat_scratch)
	.set _ZL18flash_attn_ext_f16ILi112ELi112ELi32ELi1ELb0ELb0EEvPKcS1_S1_S1_S1_PKiPfP15HIP_vector_typeIfLj2EEffffjfiS5_IjLj3EEiiiiiiiiiiiliiliiiiil.has_dyn_sized_stack, or(0, .L_ZL14no_device_codePKciS0_iS0_.has_dyn_sized_stack)
	.set _ZL18flash_attn_ext_f16ILi112ELi112ELi32ELi1ELb0ELb0EEvPKcS1_S1_S1_S1_PKiPfP15HIP_vector_typeIfLj2EEffffjfiS5_IjLj3EEiiiiiiiiiiiliiliiiiil.has_recursion, or(0, .L_ZL14no_device_codePKciS0_iS0_.has_recursion)
	.set _ZL18flash_attn_ext_f16ILi112ELi112ELi32ELi1ELb0ELb0EEvPKcS1_S1_S1_S1_PKiPfP15HIP_vector_typeIfLj2EEffffjfiS5_IjLj3EEiiiiiiiiiiiliiliiiiil.has_indirect_call, or(0, .L_ZL14no_device_codePKciS0_iS0_.has_indirect_call)
	.section	.AMDGPU.csdata,"",@progbits
; Kernel info:
; codeLenInByte = 40
; TotalNumSgprs: 36
; NumVgprs: 50
; ScratchSize: 16
; MemoryBound: 0
; FloatMode: 240
; IeeeMode: 1
; LDSByteSize: 0 bytes/workgroup (compile time only)
; SGPRBlocks: 0
; VGPRBlocks: 3
; NumSGPRsForWavesPerEU: 36
; NumVGPRsForWavesPerEU: 50
; NamedBarCnt: 0
; Occupancy: 16
; WaveLimiterHint : 1
; COMPUTE_PGM_RSRC2:SCRATCH_EN: 1
; COMPUTE_PGM_RSRC2:USER_SGPR: 2
; COMPUTE_PGM_RSRC2:TRAP_HANDLER: 0
; COMPUTE_PGM_RSRC2:TGID_X_EN: 1
; COMPUTE_PGM_RSRC2:TGID_Y_EN: 0
; COMPUTE_PGM_RSRC2:TGID_Z_EN: 0
; COMPUTE_PGM_RSRC2:TIDIG_COMP_CNT: 0
	.section	.text._ZL18flash_attn_ext_f16ILi112ELi112ELi32ELi1ELb1ELb0EEvPKcS1_S1_S1_S1_PKiPfP15HIP_vector_typeIfLj2EEffffjfiS5_IjLj3EEiiiiiiiiiiiliiliiiiil,"axG",@progbits,_ZL18flash_attn_ext_f16ILi112ELi112ELi32ELi1ELb1ELb0EEvPKcS1_S1_S1_S1_PKiPfP15HIP_vector_typeIfLj2EEffffjfiS5_IjLj3EEiiiiiiiiiiiliiliiiiil,comdat
	.globl	_ZL18flash_attn_ext_f16ILi112ELi112ELi32ELi1ELb1ELb0EEvPKcS1_S1_S1_S1_PKiPfP15HIP_vector_typeIfLj2EEffffjfiS5_IjLj3EEiiiiiiiiiiiliiliiiiil ; -- Begin function _ZL18flash_attn_ext_f16ILi112ELi112ELi32ELi1ELb1ELb0EEvPKcS1_S1_S1_S1_PKiPfP15HIP_vector_typeIfLj2EEffffjfiS5_IjLj3EEiiiiiiiiiiiliiliiiiil
	.p2align	8
	.type	_ZL18flash_attn_ext_f16ILi112ELi112ELi32ELi1ELb1ELb0EEvPKcS1_S1_S1_S1_PKiPfP15HIP_vector_typeIfLj2EEffffjfiS5_IjLj3EEiiiiiiiiiiiliiliiiiil,@function
_ZL18flash_attn_ext_f16ILi112ELi112ELi32ELi1ELb1ELb0EEvPKcS1_S1_S1_S1_PKiPfP15HIP_vector_typeIfLj2EEffffjfiS5_IjLj3EEiiiiiiiiiiiliiliiiiil: ; @_ZL18flash_attn_ext_f16ILi112ELi112ELi32ELi1ELb1ELb0EEvPKcS1_S1_S1_S1_PKiPfP15HIP_vector_typeIfLj2EEffffjfiS5_IjLj3EEiiiiiiiiiiiliiliiiiil
; %bb.0:
	v_mov_b32_e32 v0, 0x6cc
	s_add_nc_u64 s[8:9], s[0:1], 0xd0
	s_get_pc_i64 s[0:1]
	s_add_nc_u64 s[0:1], s[0:1], _ZL14no_device_codePKciS0_iS0_@rel64+4
	s_mov_b32 s32, 0
	s_swap_pc_i64 s[30:31], s[0:1]
	.section	.rodata,"a",@progbits
	.p2align	6, 0x0
	.amdhsa_kernel _ZL18flash_attn_ext_f16ILi112ELi112ELi32ELi1ELb1ELb0EEvPKcS1_S1_S1_S1_PKiPfP15HIP_vector_typeIfLj2EEffffjfiS5_IjLj3EEiiiiiiiiiiiliiliiiiil
		.amdhsa_group_segment_fixed_size 0
		.amdhsa_private_segment_fixed_size 16
		.amdhsa_kernarg_size 464
		.amdhsa_user_sgpr_count 2
		.amdhsa_user_sgpr_dispatch_ptr 0
		.amdhsa_user_sgpr_queue_ptr 0
		.amdhsa_user_sgpr_kernarg_segment_ptr 1
		.amdhsa_user_sgpr_dispatch_id 0
		.amdhsa_user_sgpr_kernarg_preload_length 0
		.amdhsa_user_sgpr_kernarg_preload_offset 0
		.amdhsa_user_sgpr_private_segment_size 0
		.amdhsa_wavefront_size32 1
		.amdhsa_uses_dynamic_stack 0
		.amdhsa_enable_private_segment 1
		.amdhsa_system_sgpr_workgroup_id_x 1
		.amdhsa_system_sgpr_workgroup_id_y 0
		.amdhsa_system_sgpr_workgroup_id_z 0
		.amdhsa_system_sgpr_workgroup_info 0
		.amdhsa_system_vgpr_workitem_id 0
		.amdhsa_next_free_vgpr 50
		.amdhsa_next_free_sgpr 34
		.amdhsa_named_barrier_count 0
		.amdhsa_reserve_vcc 1
		.amdhsa_float_round_mode_32 0
		.amdhsa_float_round_mode_16_64 0
		.amdhsa_float_denorm_mode_32 3
		.amdhsa_float_denorm_mode_16_64 3
		.amdhsa_fp16_overflow 0
		.amdhsa_memory_ordered 1
		.amdhsa_forward_progress 1
		.amdhsa_inst_pref_size 1
		.amdhsa_round_robin_scheduling 0
		.amdhsa_exception_fp_ieee_invalid_op 0
		.amdhsa_exception_fp_denorm_src 0
		.amdhsa_exception_fp_ieee_div_zero 0
		.amdhsa_exception_fp_ieee_overflow 0
		.amdhsa_exception_fp_ieee_underflow 0
		.amdhsa_exception_fp_ieee_inexact 0
		.amdhsa_exception_int_div_zero 0
	.end_amdhsa_kernel
	.section	.text._ZL18flash_attn_ext_f16ILi112ELi112ELi32ELi1ELb1ELb0EEvPKcS1_S1_S1_S1_PKiPfP15HIP_vector_typeIfLj2EEffffjfiS5_IjLj3EEiiiiiiiiiiiliiliiiiil,"axG",@progbits,_ZL18flash_attn_ext_f16ILi112ELi112ELi32ELi1ELb1ELb0EEvPKcS1_S1_S1_S1_PKiPfP15HIP_vector_typeIfLj2EEffffjfiS5_IjLj3EEiiiiiiiiiiiliiliiiiil,comdat
.Lfunc_end20:
	.size	_ZL18flash_attn_ext_f16ILi112ELi112ELi32ELi1ELb1ELb0EEvPKcS1_S1_S1_S1_PKiPfP15HIP_vector_typeIfLj2EEffffjfiS5_IjLj3EEiiiiiiiiiiiliiliiiiil, .Lfunc_end20-_ZL18flash_attn_ext_f16ILi112ELi112ELi32ELi1ELb1ELb0EEvPKcS1_S1_S1_S1_PKiPfP15HIP_vector_typeIfLj2EEffffjfiS5_IjLj3EEiiiiiiiiiiiliiliiiiil
                                        ; -- End function
	.set _ZL18flash_attn_ext_f16ILi112ELi112ELi32ELi1ELb1ELb0EEvPKcS1_S1_S1_S1_PKiPfP15HIP_vector_typeIfLj2EEffffjfiS5_IjLj3EEiiiiiiiiiiiliiliiiiil.num_vgpr, max(1, .L_ZL14no_device_codePKciS0_iS0_.num_vgpr)
	.set _ZL18flash_attn_ext_f16ILi112ELi112ELi32ELi1ELb1ELb0EEvPKcS1_S1_S1_S1_PKiPfP15HIP_vector_typeIfLj2EEffffjfiS5_IjLj3EEiiiiiiiiiiiliiliiiiil.num_agpr, max(0, .L_ZL14no_device_codePKciS0_iS0_.num_agpr)
	.set _ZL18flash_attn_ext_f16ILi112ELi112ELi32ELi1ELb1ELb0EEvPKcS1_S1_S1_S1_PKiPfP15HIP_vector_typeIfLj2EEffffjfiS5_IjLj3EEiiiiiiiiiiiliiliiiiil.numbered_sgpr, max(33, .L_ZL14no_device_codePKciS0_iS0_.numbered_sgpr)
	.set _ZL18flash_attn_ext_f16ILi112ELi112ELi32ELi1ELb1ELb0EEvPKcS1_S1_S1_S1_PKiPfP15HIP_vector_typeIfLj2EEffffjfiS5_IjLj3EEiiiiiiiiiiiliiliiiiil.num_named_barrier, max(0, .L_ZL14no_device_codePKciS0_iS0_.num_named_barrier)
	.set _ZL18flash_attn_ext_f16ILi112ELi112ELi32ELi1ELb1ELb0EEvPKcS1_S1_S1_S1_PKiPfP15HIP_vector_typeIfLj2EEffffjfiS5_IjLj3EEiiiiiiiiiiiliiliiiiil.private_seg_size, 0+max(.L_ZL14no_device_codePKciS0_iS0_.private_seg_size)
	.set _ZL18flash_attn_ext_f16ILi112ELi112ELi32ELi1ELb1ELb0EEvPKcS1_S1_S1_S1_PKiPfP15HIP_vector_typeIfLj2EEffffjfiS5_IjLj3EEiiiiiiiiiiiliiliiiiil.uses_vcc, or(1, .L_ZL14no_device_codePKciS0_iS0_.uses_vcc)
	.set _ZL18flash_attn_ext_f16ILi112ELi112ELi32ELi1ELb1ELb0EEvPKcS1_S1_S1_S1_PKiPfP15HIP_vector_typeIfLj2EEffffjfiS5_IjLj3EEiiiiiiiiiiiliiliiiiil.uses_flat_scratch, or(0, .L_ZL14no_device_codePKciS0_iS0_.uses_flat_scratch)
	.set _ZL18flash_attn_ext_f16ILi112ELi112ELi32ELi1ELb1ELb0EEvPKcS1_S1_S1_S1_PKiPfP15HIP_vector_typeIfLj2EEffffjfiS5_IjLj3EEiiiiiiiiiiiliiliiiiil.has_dyn_sized_stack, or(0, .L_ZL14no_device_codePKciS0_iS0_.has_dyn_sized_stack)
	.set _ZL18flash_attn_ext_f16ILi112ELi112ELi32ELi1ELb1ELb0EEvPKcS1_S1_S1_S1_PKiPfP15HIP_vector_typeIfLj2EEffffjfiS5_IjLj3EEiiiiiiiiiiiliiliiiiil.has_recursion, or(0, .L_ZL14no_device_codePKciS0_iS0_.has_recursion)
	.set _ZL18flash_attn_ext_f16ILi112ELi112ELi32ELi1ELb1ELb0EEvPKcS1_S1_S1_S1_PKiPfP15HIP_vector_typeIfLj2EEffffjfiS5_IjLj3EEiiiiiiiiiiiliiliiiiil.has_indirect_call, or(0, .L_ZL14no_device_codePKciS0_iS0_.has_indirect_call)
	.section	.AMDGPU.csdata,"",@progbits
; Kernel info:
; codeLenInByte = 40
; TotalNumSgprs: 36
; NumVgprs: 50
; ScratchSize: 16
; MemoryBound: 0
; FloatMode: 240
; IeeeMode: 1
; LDSByteSize: 0 bytes/workgroup (compile time only)
; SGPRBlocks: 0
; VGPRBlocks: 3
; NumSGPRsForWavesPerEU: 36
; NumVGPRsForWavesPerEU: 50
; NamedBarCnt: 0
; Occupancy: 16
; WaveLimiterHint : 1
; COMPUTE_PGM_RSRC2:SCRATCH_EN: 1
; COMPUTE_PGM_RSRC2:USER_SGPR: 2
; COMPUTE_PGM_RSRC2:TRAP_HANDLER: 0
; COMPUTE_PGM_RSRC2:TGID_X_EN: 1
; COMPUTE_PGM_RSRC2:TGID_Y_EN: 0
; COMPUTE_PGM_RSRC2:TGID_Z_EN: 0
; COMPUTE_PGM_RSRC2:TIDIG_COMP_CNT: 0
	.section	.text._ZL33flash_attn_stream_k_fixup_uniformILi112ELi32ELi1EEvPfPK15HIP_vector_typeIfLj2EEiiiiiiS1_IjLj3EES5_S5_,"axG",@progbits,_ZL33flash_attn_stream_k_fixup_uniformILi112ELi32ELi1EEvPfPK15HIP_vector_typeIfLj2EEiiiiiiS1_IjLj3EES5_S5_,comdat
	.globl	_ZL33flash_attn_stream_k_fixup_uniformILi112ELi32ELi1EEvPfPK15HIP_vector_typeIfLj2EEiiiiiiS1_IjLj3EES5_S5_ ; -- Begin function _ZL33flash_attn_stream_k_fixup_uniformILi112ELi32ELi1EEvPfPK15HIP_vector_typeIfLj2EEiiiiiiS1_IjLj3EES5_S5_
	.p2align	8
	.type	_ZL33flash_attn_stream_k_fixup_uniformILi112ELi32ELi1EEvPfPK15HIP_vector_typeIfLj2EEiiiiiiS1_IjLj3EES5_S5_,@function
_ZL33flash_attn_stream_k_fixup_uniformILi112ELi32ELi1EEvPfPK15HIP_vector_typeIfLj2EEiiiiiiS1_IjLj3EES5_S5_: ; @_ZL33flash_attn_stream_k_fixup_uniformILi112ELi32ELi1EEvPfPK15HIP_vector_typeIfLj2EEiiiiiiS1_IjLj3EES5_S5_
; %bb.0:
	s_load_b256 s[4:11], s[0:1], 0x1c
	s_bfe_u32 s2, ttmp6, 0x40014
	s_lshr_b32 s3, ttmp7, 16
	s_add_co_i32 s2, s2, 1
	s_bfe_u32 s13, ttmp6, 0x40010
	s_mul_i32 s2, s3, s2
	s_bfe_u32 s12, ttmp6, 0x40008
	s_and_b32 s14, ttmp7, 0xffff
	s_add_co_i32 s13, s13, 1
	s_bfe_u32 s15, ttmp6, 0x4000c
	s_add_co_i32 s2, s12, s2
	s_mul_i32 s12, s14, s13
	s_bfe_u32 s13, ttmp6, 0x40004
	s_add_co_i32 s15, s15, 1
	s_add_co_i32 s13, s13, s12
	s_and_b32 s12, ttmp6, 15
	s_mul_i32 s15, ttmp9, s15
	s_getreg_b32 s20, hwreg(HW_REG_IB_STS2, 6, 4)
	s_add_co_i32 s12, s12, s15
	s_load_b128 s[16:19], s[0:1], 0x3c
	s_cmp_eq_u32 s20, 0
	s_cselect_b32 s12, ttmp9, s12
	s_cselect_b32 s13, s14, s13
	s_wait_kmcnt 0x0
	s_mul_hi_u32 s7, s7, s12
	s_cselect_b32 s14, s3, s2
	s_add_co_i32 s2, s12, s7
	s_delay_alu instid0(SALU_CYCLE_1) | instskip(NEXT) | instid1(SALU_CYCLE_1)
	s_lshr_b32 s7, s2, s8
	s_mul_i32 s2, s7, s9
	s_delay_alu instid0(SALU_CYCLE_1) | instskip(NEXT) | instid1(SALU_CYCLE_1)
	s_sub_co_i32 s8, s12, s2
	s_mul_hi_u32 s2, s8, s10
	s_delay_alu instid0(SALU_CYCLE_1) | instskip(SKIP_2) | instid1(SALU_CYCLE_1)
	s_add_co_i32 s9, s8, s2
	s_load_b64 s[2:3], s[0:1], 0x10
	s_lshr_b32 s15, s9, s11
	s_mul_i32 s9, s15, s16
	s_delay_alu instid0(SALU_CYCLE_1) | instskip(NEXT) | instid1(SALU_CYCLE_1)
	s_sub_co_i32 s8, s8, s9
	s_mul_hi_u32 s9, s8, s17
	s_delay_alu instid0(SALU_CYCLE_1) | instskip(NEXT) | instid1(SALU_CYCLE_1)
	s_add_co_i32 s9, s8, s9
	s_lshr_b32 s17, s9, s18
	s_delay_alu instid0(SALU_CYCLE_1) | instskip(NEXT) | instid1(SALU_CYCLE_1)
	s_mul_i32 s9, s17, s19
	s_sub_co_i32 s16, s8, s9
	s_delay_alu instid0(SALU_CYCLE_1) | instskip(NEXT) | instid1(SALU_CYCLE_1)
	s_lshl_b32 s8, s16, 5
	s_add_co_i32 s8, s8, s13
	s_wait_kmcnt 0x0
	s_cmp_lt_i32 s8, s2
	s_cselect_b32 s8, -1, 0
	s_add_co_i32 s17, s17, s14
	s_delay_alu instid0(SALU_CYCLE_1) | instskip(SKIP_1) | instid1(SALU_CYCLE_1)
	s_cmp_lt_i32 s17, s5
	s_cselect_b32 s9, -1, 0
	s_and_b32 s8, s8, s9
	s_delay_alu instid0(SALU_CYCLE_1)
	s_and_not1_b32 vcc_lo, exec_lo, s8
	s_cbranch_vccnz .LBB21_6
; %bb.1:
	s_load_b128 s[8:11], s[0:1], 0x0
	s_wait_xcnt 0x0
	s_mul_i32 s0, s7, s2
	s_mul_i32 s15, s15, s5
	s_add_co_i32 s0, s0, s13
	s_add_co_i32 s1, s17, s15
	s_mul_i32 s0, s0, s3
	s_mul_i32 s2, s3, s16
	s_add_co_i32 s0, s1, s0
	s_mulk_i32 s2, 0xe00
	s_mulk_i32 s0, 0x70
	s_mul_i32 s7, s6, s12
	v_add3_u32 v4, s0, s2, v0
	s_add_co_i32 s5, s7, s6
	s_add_co_i32 s13, s13, s14
	s_lshl_b32 s0, s5, 5
	s_add_co_i32 s2, s5, -2
	s_add_co_i32 s0, s13, s0
	v_ashrrev_i32_e32 v5, 31, v4
	s_sub_co_i32 s0, s0, 32
	s_delay_alu instid0(SALU_CYCLE_1)
	s_ashr_i32 s1, s0, 31
	s_wait_kmcnt 0x0
	global_load_b32 v3, v4, s[8:9] scale_offset
	s_lshl_b64 s[0:1], s[0:1], 3
	s_cmp_lt_i32 s2, s7
	s_add_nc_u64 s[0:1], s[10:11], s[0:1]
	s_load_b32 s14, s[0:1], 0x4
	s_cbranch_scc1 .LBB21_4
; %bb.2:
	s_wait_xcnt 0x0
	s_load_b32 s0, s[0:1], 0x0
	s_add_co_i32 s12, s12, 1
	s_lshl_b32 s2, s4, 7
	s_wait_xcnt 0x0
	s_mul_i32 s1, s6, s12
	s_mul_i32 s6, s13, 0x70
	s_lshl_b32 s12, s1, 5
	s_mulk_i32 s1, 0xe00
	s_ashr_i32 s3, s2, 31
	s_add_co_i32 s6, s6, s1
	s_add_co_i32 s12, s13, s12
	s_lshl_b32 s1, s4, 5
	v_add3_u32 v0, s6, v0, 0xffffe400
	s_wait_kmcnt 0x0
	v_mov_b32_e32 v2, s14
	s_lshl_b64 s[2:3], s[2:3], 2
	s_add_co_i32 s12, s12, s1
	s_add_nc_u64 s[2:3], s[10:11], s[2:3]
	s_add_co_i32 s1, s5, -1
	s_sub_co_i32 s4, s12, 64
.LBB21_3:                               ; =>This Inner Loop Header: Depth=1
	global_load_b32 v7, v0, s[2:3] scale_offset
	s_ashr_i32 s5, s4, 31
	v_max_num_f32_e64 v1, s0, s0
	s_lshl_b64 s[12:13], s[4:5], 3
	s_delay_alu instid0(SALU_CYCLE_1) | instskip(SKIP_1) | instid1(VALU_DEP_1)
	s_add_nc_u64 s[12:13], s[10:11], s[12:13]
	s_load_b64 s[12:13], s[12:13], 0x0
	v_readfirstlane_b32 s5, v1
	v_add_nc_u32_e32 v0, 0xfffff200, v0
	s_wait_kmcnt 0x0
	v_max_num_f32_e64 v1, s12, s12
	s_delay_alu instid0(VALU_DEP_1) | instskip(SKIP_1) | instid1(SALU_CYCLE_3)
	v_readfirstlane_b32 s6, v1
	s_max_num_f32 s5, s5, s6
	s_sub_f32 s0, s0, s5
	s_sub_f32 s6, s12, s5
	s_delay_alu instid0(SALU_CYCLE_2) | instskip(NEXT) | instid1(SALU_CYCLE_2)
	s_mul_f32 s12, s0, 0x3fb8aa3b
	s_mul_f32 s14, s6, 0x3fb8aa3b
	s_delay_alu instid0(SALU_CYCLE_2)
	s_xor_b32 s15, s12, 0x80000000
	s_rndne_f32 s16, s12
	s_fmamk_f32 s15, s0, 0x3fb8aa3b, s15
	s_cmp_nlt_f32 s0, 0xc2ce8ed0
	s_rndne_f32 s17, s14
	s_sub_f32 s12, s12, s16
	s_fmamk_f32 s15, s0, 0x32a5705f, s15
	s_cselect_b32 vcc_lo, -1, 0
	s_cmp_ngt_f32 s0, 0x42b17218
	s_delay_alu instid0(SALU_CYCLE_1) | instskip(SKIP_2) | instid1(SALU_CYCLE_1)
	s_add_f32 s12, s12, s15
	s_cvt_i32_f32 s15, s16
	s_sub_f32 s16, s14, s17
	v_s_exp_f32 s12, s12
	v_nop
	s_delay_alu instid0(TRANS32_DEP_1) | instskip(SKIP_1) | instid1(VALU_DEP_1)
	v_ldexp_f32 v1, s12, s15
	s_cvt_i32_f32 s12, s17
	v_cndmask_b32_e32 v1, 0, v1, vcc_lo
	s_cselect_b32 vcc_lo, -1, 0
	s_cmp_ge_f32 s0, 0xc1a00000
	s_delay_alu instid0(VALU_DEP_1)
	v_cndmask_b32_e32 v1, 0x7f800000, v1, vcc_lo
	s_cselect_b32 vcc_lo, -1, 0
	s_xor_b32 s0, s14, 0x80000000
	s_cmp_nlt_f32 s6, 0xc2ce8ed0
	s_fmamk_f32 s0, s6, 0x3fb8aa3b, s0
	v_cndmask_b32_e32 v10, 0, v1, vcc_lo
	s_delay_alu instid0(SALU_CYCLE_2) | instskip(NEXT) | instid1(SALU_CYCLE_3)
	s_fmamk_f32 s0, s6, 0x32a5705f, s0
	s_add_f32 s0, s16, s0
	s_delay_alu instid0(SALU_CYCLE_3) | instskip(SKIP_1) | instid1(TRANS32_DEP_1)
	v_s_exp_f32 s0, s0
	v_nop
	v_ldexp_f32 v6, s0, s12
	s_cselect_b32 s0, -1, 0
	s_cmp_ngt_f32 s6, 0x42b17218
	s_delay_alu instid0(VALU_DEP_1) | instskip(SKIP_2) | instid1(VALU_DEP_1)
	v_cndmask_b32_e64 v6, 0, v6, s0
	s_cselect_b32 s0, -1, 0
	s_cmp_ge_f32 s6, 0xc1a00000
	v_cndmask_b32_e64 v8, 0x7f800000, v6, s0
	s_cselect_b32 s0, -1, 0
	v_mov_b32_e32 v6, s13
	s_add_co_i32 s1, s1, -1
	s_sub_co_i32 s4, s4, 32
	v_cndmask_b32_e64 v8, 0, v8, s0
	s_cmp_le_i32 s1, s7
	s_mov_b32 s0, s5
	s_wait_loadcnt 0x0
	s_delay_alu instid0(VALU_DEP_1) | instskip(NEXT) | instid1(VALU_DEP_1)
	v_pk_mul_f32 v[6:7], v[6:7], v[8:9] op_sel_hi:[1,0]
	v_pk_fma_f32 v[2:3], v[2:3], v[10:11], v[6:7] op_sel_hi:[1,0,1]
	s_cbranch_scc0 .LBB21_3
	s_branch .LBB21_5
.LBB21_4:
	s_wait_kmcnt 0x0
	v_mov_b32_e32 v2, s14
.LBB21_5:
	v_lshl_add_u64 v[0:1], v[4:5], 2, s[8:9]
	s_wait_loadcnt 0x0
	s_delay_alu instid0(VALU_DEP_2) | instskip(NEXT) | instid1(VALU_DEP_1)
	v_div_scale_f32 v4, null, v2, v2, v3
	v_rcp_f32_e32 v5, v4
	v_nop
	s_delay_alu instid0(TRANS32_DEP_1) | instskip(NEXT) | instid1(VALU_DEP_1)
	v_fma_f32 v6, -v4, v5, 1.0
	v_fmac_f32_e32 v5, v6, v5
	v_div_scale_f32 v6, vcc_lo, v3, v2, v3
	s_delay_alu instid0(VALU_DEP_1) | instskip(NEXT) | instid1(VALU_DEP_1)
	v_mul_f32_e32 v7, v6, v5
	v_fma_f32 v8, -v4, v7, v6
	s_delay_alu instid0(VALU_DEP_1) | instskip(NEXT) | instid1(VALU_DEP_1)
	v_fmac_f32_e32 v7, v8, v5
	v_fma_f32 v4, -v4, v7, v6
	s_delay_alu instid0(VALU_DEP_1) | instskip(NEXT) | instid1(VALU_DEP_1)
	v_div_fmas_f32 v4, v4, v5, v7
	v_div_fixup_f32 v2, v4, v2, v3
	global_store_b32 v[0:1], v2, off
.LBB21_6:
	s_endpgm
	.section	.rodata,"a",@progbits
	.p2align	6, 0x0
	.amdhsa_kernel _ZL33flash_attn_stream_k_fixup_uniformILi112ELi32ELi1EEvPfPK15HIP_vector_typeIfLj2EEiiiiiiS1_IjLj3EES5_S5_
		.amdhsa_group_segment_fixed_size 0
		.amdhsa_private_segment_fixed_size 0
		.amdhsa_kernarg_size 76
		.amdhsa_user_sgpr_count 2
		.amdhsa_user_sgpr_dispatch_ptr 0
		.amdhsa_user_sgpr_queue_ptr 0
		.amdhsa_user_sgpr_kernarg_segment_ptr 1
		.amdhsa_user_sgpr_dispatch_id 0
		.amdhsa_user_sgpr_kernarg_preload_length 0
		.amdhsa_user_sgpr_kernarg_preload_offset 0
		.amdhsa_user_sgpr_private_segment_size 0
		.amdhsa_wavefront_size32 1
		.amdhsa_uses_dynamic_stack 0
		.amdhsa_enable_private_segment 0
		.amdhsa_system_sgpr_workgroup_id_x 1
		.amdhsa_system_sgpr_workgroup_id_y 1
		.amdhsa_system_sgpr_workgroup_id_z 1
		.amdhsa_system_sgpr_workgroup_info 0
		.amdhsa_system_vgpr_workitem_id 0
		.amdhsa_next_free_vgpr 12
		.amdhsa_next_free_sgpr 21
		.amdhsa_named_barrier_count 0
		.amdhsa_reserve_vcc 1
		.amdhsa_float_round_mode_32 0
		.amdhsa_float_round_mode_16_64 0
		.amdhsa_float_denorm_mode_32 3
		.amdhsa_float_denorm_mode_16_64 3
		.amdhsa_fp16_overflow 0
		.amdhsa_memory_ordered 1
		.amdhsa_forward_progress 1
		.amdhsa_inst_pref_size 9
		.amdhsa_round_robin_scheduling 0
		.amdhsa_exception_fp_ieee_invalid_op 0
		.amdhsa_exception_fp_denorm_src 0
		.amdhsa_exception_fp_ieee_div_zero 0
		.amdhsa_exception_fp_ieee_overflow 0
		.amdhsa_exception_fp_ieee_underflow 0
		.amdhsa_exception_fp_ieee_inexact 0
		.amdhsa_exception_int_div_zero 0
	.end_amdhsa_kernel
	.section	.text._ZL33flash_attn_stream_k_fixup_uniformILi112ELi32ELi1EEvPfPK15HIP_vector_typeIfLj2EEiiiiiiS1_IjLj3EES5_S5_,"axG",@progbits,_ZL33flash_attn_stream_k_fixup_uniformILi112ELi32ELi1EEvPfPK15HIP_vector_typeIfLj2EEiiiiiiS1_IjLj3EES5_S5_,comdat
.Lfunc_end21:
	.size	_ZL33flash_attn_stream_k_fixup_uniformILi112ELi32ELi1EEvPfPK15HIP_vector_typeIfLj2EEiiiiiiS1_IjLj3EES5_S5_, .Lfunc_end21-_ZL33flash_attn_stream_k_fixup_uniformILi112ELi32ELi1EEvPfPK15HIP_vector_typeIfLj2EEiiiiiiS1_IjLj3EES5_S5_
                                        ; -- End function
	.set _ZL33flash_attn_stream_k_fixup_uniformILi112ELi32ELi1EEvPfPK15HIP_vector_typeIfLj2EEiiiiiiS1_IjLj3EES5_S5_.num_vgpr, 12
	.set _ZL33flash_attn_stream_k_fixup_uniformILi112ELi32ELi1EEvPfPK15HIP_vector_typeIfLj2EEiiiiiiS1_IjLj3EES5_S5_.num_agpr, 0
	.set _ZL33flash_attn_stream_k_fixup_uniformILi112ELi32ELi1EEvPfPK15HIP_vector_typeIfLj2EEiiiiiiS1_IjLj3EES5_S5_.numbered_sgpr, 21
	.set _ZL33flash_attn_stream_k_fixup_uniformILi112ELi32ELi1EEvPfPK15HIP_vector_typeIfLj2EEiiiiiiS1_IjLj3EES5_S5_.num_named_barrier, 0
	.set _ZL33flash_attn_stream_k_fixup_uniformILi112ELi32ELi1EEvPfPK15HIP_vector_typeIfLj2EEiiiiiiS1_IjLj3EES5_S5_.private_seg_size, 0
	.set _ZL33flash_attn_stream_k_fixup_uniformILi112ELi32ELi1EEvPfPK15HIP_vector_typeIfLj2EEiiiiiiS1_IjLj3EES5_S5_.uses_vcc, 1
	.set _ZL33flash_attn_stream_k_fixup_uniformILi112ELi32ELi1EEvPfPK15HIP_vector_typeIfLj2EEiiiiiiS1_IjLj3EES5_S5_.uses_flat_scratch, 0
	.set _ZL33flash_attn_stream_k_fixup_uniformILi112ELi32ELi1EEvPfPK15HIP_vector_typeIfLj2EEiiiiiiS1_IjLj3EES5_S5_.has_dyn_sized_stack, 0
	.set _ZL33flash_attn_stream_k_fixup_uniformILi112ELi32ELi1EEvPfPK15HIP_vector_typeIfLj2EEiiiiiiS1_IjLj3EES5_S5_.has_recursion, 0
	.set _ZL33flash_attn_stream_k_fixup_uniformILi112ELi32ELi1EEvPfPK15HIP_vector_typeIfLj2EEiiiiiiS1_IjLj3EES5_S5_.has_indirect_call, 0
	.section	.AMDGPU.csdata,"",@progbits
; Kernel info:
; codeLenInByte = 1072
; TotalNumSgprs: 23
; NumVgprs: 12
; ScratchSize: 0
; MemoryBound: 0
; FloatMode: 240
; IeeeMode: 1
; LDSByteSize: 0 bytes/workgroup (compile time only)
; SGPRBlocks: 0
; VGPRBlocks: 0
; NumSGPRsForWavesPerEU: 23
; NumVGPRsForWavesPerEU: 12
; NamedBarCnt: 0
; Occupancy: 16
; WaveLimiterHint : 0
; COMPUTE_PGM_RSRC2:SCRATCH_EN: 0
; COMPUTE_PGM_RSRC2:USER_SGPR: 2
; COMPUTE_PGM_RSRC2:TRAP_HANDLER: 0
; COMPUTE_PGM_RSRC2:TGID_X_EN: 1
; COMPUTE_PGM_RSRC2:TGID_Y_EN: 1
; COMPUTE_PGM_RSRC2:TGID_Z_EN: 1
; COMPUTE_PGM_RSRC2:TIDIG_COMP_CNT: 0
	.section	.text._ZL33flash_attn_stream_k_fixup_generalILi112ELi32ELi1EEvPfPK15HIP_vector_typeIfLj2EEiiiiS1_IjLj3EES5_S5_S5_,"axG",@progbits,_ZL33flash_attn_stream_k_fixup_generalILi112ELi32ELi1EEvPfPK15HIP_vector_typeIfLj2EEiiiiS1_IjLj3EES5_S5_S5_,comdat
	.globl	_ZL33flash_attn_stream_k_fixup_generalILi112ELi32ELi1EEvPfPK15HIP_vector_typeIfLj2EEiiiiS1_IjLj3EES5_S5_S5_ ; -- Begin function _ZL33flash_attn_stream_k_fixup_generalILi112ELi32ELi1EEvPfPK15HIP_vector_typeIfLj2EEiiiiS1_IjLj3EES5_S5_S5_
	.p2align	8
	.type	_ZL33flash_attn_stream_k_fixup_generalILi112ELi32ELi1EEvPfPK15HIP_vector_typeIfLj2EEiiiiS1_IjLj3EES5_S5_S5_,@function
_ZL33flash_attn_stream_k_fixup_generalILi112ELi32ELi1EEvPfPK15HIP_vector_typeIfLj2EEiiiiS1_IjLj3EES5_S5_S5_: ; @_ZL33flash_attn_stream_k_fixup_generalILi112ELi32ELi1EEvPfPK15HIP_vector_typeIfLj2EEiiiiS1_IjLj3EES5_S5_S5_
; %bb.0:
	s_clause 0x1
	s_load_b128 s[4:7], s[0:1], 0x10
	s_load_b32 s16, s[0:1], 0x50
	s_bfe_u32 s2, ttmp6, 0x4000c
	s_and_b32 s3, ttmp6, 15
	s_add_co_i32 s2, s2, 1
	s_getreg_b32 s15, hwreg(HW_REG_IB_STS2, 6, 4)
	s_mul_i32 s2, ttmp9, s2
	s_mov_b32 s17, 0
	s_add_co_i32 s3, s3, s2
	s_cmp_eq_u32 s15, 0
	s_cselect_b32 s2, ttmp9, s3
	s_delay_alu instid0(SALU_CYCLE_1) | instskip(SKIP_3) | instid1(SALU_CYCLE_1)
	s_ashr_i32 s3, s2, 31
	s_wait_kmcnt 0x0
	s_ashr_i32 s19, s7, 31
	s_mov_b32 s18, s7
	s_mul_u64 s[8:9], s[18:19], s[2:3]
	s_delay_alu instid0(SALU_CYCLE_1) | instskip(NEXT) | instid1(SALU_CYCLE_1)
	s_and_b64 s[10:11], s[8:9], 0xffffffff00000000
	s_cmp_lg_u64 s[10:11], 0
	s_cbranch_scc0 .LBB22_21
; %bb.1:
	s_add_nc_u64 s[10:11], s[16:17], 0
	s_mov_b32 s23, s17
	s_xor_b64 s[10:11], s[10:11], 0
	s_mov_b32 s27, s17
	s_cvt_f32_u32 s3, s10
	s_cvt_f32_u32 s7, s11
	s_sub_nc_u64 s[20:21], 0, s[10:11]
	s_delay_alu instid0(SALU_CYCLE_2) | instskip(NEXT) | instid1(SALU_CYCLE_3)
	s_fmamk_f32 s3, s7, 0x4f800000, s3
	v_s_rcp_f32 s3, s3
	s_delay_alu instid0(TRANS32_DEP_1) | instskip(NEXT) | instid1(SALU_CYCLE_3)
	s_mul_f32 s3, s3, 0x5f7ffffc
	s_mul_f32 s7, s3, 0x2f800000
	s_delay_alu instid0(SALU_CYCLE_3) | instskip(NEXT) | instid1(SALU_CYCLE_3)
	s_trunc_f32 s7, s7
	s_fmamk_f32 s3, s7, 0xcf800000, s3
	s_cvt_u32_f32 s13, s7
	s_delay_alu instid0(SALU_CYCLE_2) | instskip(NEXT) | instid1(SALU_CYCLE_3)
	s_cvt_u32_f32 s12, s3
	s_mul_u64 s[24:25], s[20:21], s[12:13]
	s_delay_alu instid0(SALU_CYCLE_1)
	s_mul_hi_u32 s29, s12, s25
	s_mul_i32 s28, s12, s25
	s_mul_hi_u32 s22, s12, s24
	s_mul_i32 s7, s13, s24
	s_add_nc_u64 s[22:23], s[22:23], s[28:29]
	s_mul_hi_u32 s3, s13, s24
	s_mul_hi_u32 s14, s13, s25
	s_add_co_u32 s7, s22, s7
	s_add_co_ci_u32 s26, s23, s3
	s_mul_i32 s24, s13, s25
	s_add_co_ci_u32 s25, s14, 0
	s_delay_alu instid0(SALU_CYCLE_1) | instskip(SKIP_3) | instid1(SALU_CYCLE_1)
	s_add_nc_u64 s[22:23], s[26:27], s[24:25]
	s_mov_b32 s25, s17
	s_add_co_u32 s12, s12, s22
	s_cselect_b32 s3, -1, 0
	s_cmp_lg_u32 s3, 0
	s_add_co_ci_u32 s13, s13, s23
	s_mov_b32 s23, s17
	s_mul_u64 s[20:21], s[20:21], s[12:13]
	s_delay_alu instid0(SALU_CYCLE_1)
	s_mul_hi_u32 s27, s12, s21
	s_mul_i32 s26, s12, s21
	s_mul_hi_u32 s22, s12, s20
	s_mul_i32 s7, s13, s20
	s_add_nc_u64 s[22:23], s[22:23], s[26:27]
	s_mul_hi_u32 s3, s13, s20
	s_mul_hi_u32 s14, s13, s21
	s_add_co_u32 s7, s22, s7
	s_add_co_ci_u32 s24, s23, s3
	s_mul_i32 s20, s13, s21
	s_add_co_ci_u32 s21, s14, 0
	s_mov_b32 s23, s17
	s_add_nc_u64 s[20:21], s[24:25], s[20:21]
	s_delay_alu instid0(SALU_CYCLE_1) | instskip(SKIP_1) | instid1(SALU_CYCLE_1)
	s_add_co_u32 s3, s12, s20
	s_cselect_b32 s7, -1, 0
	s_cmp_lg_u32 s7, 0
	s_add_co_ci_u32 s7, s13, s21
	s_ashr_i32 s12, s9, 31
	s_delay_alu instid0(SALU_CYCLE_1) | instskip(NEXT) | instid1(SALU_CYCLE_1)
	s_mov_b32 s13, s12
	s_add_nc_u64 s[20:21], s[8:9], s[12:13]
	s_delay_alu instid0(SALU_CYCLE_1) | instskip(NEXT) | instid1(SALU_CYCLE_1)
	s_xor_b64 s[20:21], s[20:21], s[12:13]
	s_mul_hi_u32 s27, s20, s7
	s_mul_i32 s26, s20, s7
	s_mul_hi_u32 s22, s20, s3
	s_mul_hi_u32 s14, s21, s3
	s_mul_i32 s3, s21, s3
	s_add_nc_u64 s[22:23], s[22:23], s[26:27]
	s_mul_hi_u32 s9, s21, s7
	s_add_co_u32 s3, s22, s3
	s_add_co_ci_u32 s24, s23, s14
	s_mul_i32 s26, s21, s7
	s_add_co_ci_u32 s27, s9, 0
	s_delay_alu instid0(SALU_CYCLE_1) | instskip(NEXT) | instid1(SALU_CYCLE_1)
	s_add_nc_u64 s[22:23], s[24:25], s[26:27]
	s_and_b64 s[24:25], s[22:23], 0xffffffff00000000
	s_delay_alu instid0(SALU_CYCLE_1) | instskip(NEXT) | instid1(SALU_CYCLE_1)
	s_or_b32 s24, s24, s22
	s_mul_u64 s[22:23], s[10:11], s[24:25]
	s_add_nc_u64 s[26:27], s[24:25], 1
	s_sub_co_u32 s3, s20, s22
	s_cselect_b32 s7, -1, 0
	s_sub_co_i32 s9, s21, s23
	s_cmp_lg_u32 s7, 0
	s_add_nc_u64 s[28:29], s[24:25], 2
	s_sub_co_ci_u32 s9, s9, s11
	s_sub_co_u32 s14, s3, s10
	s_cselect_b32 s20, -1, 0
	s_delay_alu instid0(SALU_CYCLE_1) | instskip(SKIP_1) | instid1(SALU_CYCLE_1)
	s_cmp_lg_u32 s20, 0
	s_sub_co_ci_u32 s9, s9, 0
	s_cmp_ge_u32 s9, s11
	s_cselect_b32 s20, -1, 0
	s_cmp_ge_u32 s14, s10
	s_cselect_b32 s14, -1, 0
	s_cmp_eq_u32 s9, s11
	s_cselect_b32 s9, s14, s20
	s_delay_alu instid0(SALU_CYCLE_1) | instskip(SKIP_4) | instid1(SALU_CYCLE_1)
	s_cmp_lg_u32 s9, 0
	s_cselect_b32 s9, s28, s26
	s_cselect_b32 s14, s29, s27
	s_cmp_lg_u32 s7, 0
	s_sub_co_ci_u32 s7, s21, s23
	s_cmp_ge_u32 s7, s11
	s_cselect_b32 s20, -1, 0
	s_cmp_ge_u32 s3, s10
	s_cselect_b32 s3, -1, 0
	s_cmp_eq_u32 s7, s11
	s_cselect_b32 s3, s3, s20
	s_delay_alu instid0(SALU_CYCLE_1) | instskip(SKIP_4) | instid1(SALU_CYCLE_1)
	s_cmp_lg_u32 s3, 0
	s_mov_b32 s3, s17
	s_cselect_b32 s11, s14, s25
	s_cselect_b32 s10, s9, s24
	s_xor_b64 s[12:13], s[12:13], 0
	s_xor_b64 s[10:11], s[10:11], s[12:13]
	s_delay_alu instid0(SALU_CYCLE_1)
	s_sub_nc_u64 s[20:21], s[10:11], s[12:13]
	s_and_not1_b32 vcc_lo, exec_lo, s3
	s_cbranch_vccnz .LBB22_3
.LBB22_2:
	v_cvt_f32_u32_e32 v1, s16
	s_sub_co_i32 s7, 0, s16
	s_mov_b32 s21, 0
	s_delay_alu instid0(VALU_DEP_1) | instskip(SKIP_1) | instid1(TRANS32_DEP_1)
	v_rcp_iflag_f32_e32 v1, v1
	v_nop
	v_mul_f32_e32 v1, 0x4f7ffffe, v1
	s_delay_alu instid0(VALU_DEP_1) | instskip(NEXT) | instid1(VALU_DEP_1)
	v_cvt_u32_f32_e32 v1, v1
	v_readfirstlane_b32 s3, v1
	s_mul_i32 s7, s7, s3
	s_delay_alu instid0(SALU_CYCLE_1) | instskip(NEXT) | instid1(SALU_CYCLE_1)
	s_mul_hi_u32 s7, s3, s7
	s_add_co_i32 s3, s3, s7
	s_delay_alu instid0(SALU_CYCLE_1) | instskip(NEXT) | instid1(SALU_CYCLE_1)
	s_mul_hi_u32 s3, s8, s3
	s_mul_i32 s7, s3, s16
	s_delay_alu instid0(SALU_CYCLE_1)
	s_sub_co_i32 s7, s8, s7
	s_add_co_i32 s8, s3, 1
	s_sub_co_i32 s9, s7, s16
	s_cmp_ge_u32 s7, s16
	s_cselect_b32 s3, s8, s3
	s_cselect_b32 s7, s9, s7
	s_add_co_i32 s8, s3, 1
	s_cmp_ge_u32 s7, s16
	s_cselect_b32 s20, s8, s3
.LBB22_3:
	s_add_co_i32 s8, s2, 1
	s_delay_alu instid0(SALU_CYCLE_1) | instskip(NEXT) | instid1(SALU_CYCLE_1)
	s_ashr_i32 s9, s8, 31
	s_mul_u64 s[8:9], s[18:19], s[8:9]
	s_delay_alu instid0(SALU_CYCLE_1) | instskip(NEXT) | instid1(SALU_CYCLE_1)
	s_and_b64 s[10:11], s[8:9], 0xffffffff00000000
	s_cmp_lg_u64 s[10:11], 0
	s_cbranch_scc0 .LBB22_22
; %bb.4:
	s_add_nc_u64 s[10:11], s[16:17], 0
	s_delay_alu instid0(SALU_CYCLE_1) | instskip(SKIP_4) | instid1(SALU_CYCLE_2)
	s_xor_b64 s[12:13], s[10:11], 0
	s_mov_b32 s11, 0
	s_cvt_f32_u32 s3, s12
	s_cvt_f32_u32 s7, s13
	s_sub_nc_u64 s[24:25], 0, s[12:13]
	s_fmamk_f32 s3, s7, 0x4f800000, s3
	s_delay_alu instid0(SALU_CYCLE_3) | instskip(NEXT) | instid1(TRANS32_DEP_1)
	v_s_rcp_f32 s3, s3
	s_mul_f32 s3, s3, 0x5f7ffffc
	s_delay_alu instid0(SALU_CYCLE_3) | instskip(NEXT) | instid1(SALU_CYCLE_3)
	s_mul_f32 s7, s3, 0x2f800000
	s_trunc_f32 s7, s7
	s_delay_alu instid0(SALU_CYCLE_3) | instskip(SKIP_1) | instid1(SALU_CYCLE_2)
	s_fmamk_f32 s3, s7, 0xcf800000, s3
	s_cvt_u32_f32 s23, s7
	s_cvt_u32_f32 s22, s3
	s_delay_alu instid0(SALU_CYCLE_3) | instskip(NEXT) | instid1(SALU_CYCLE_1)
	s_mul_u64 s[26:27], s[24:25], s[22:23]
	s_mul_hi_u32 s29, s22, s27
	s_mul_i32 s28, s22, s27
	s_mul_hi_u32 s10, s22, s26
	s_mul_i32 s7, s23, s26
	s_add_nc_u64 s[28:29], s[10:11], s[28:29]
	s_mul_hi_u32 s3, s23, s26
	s_mul_hi_u32 s14, s23, s27
	s_add_co_u32 s7, s28, s7
	s_add_co_ci_u32 s10, s29, s3
	s_mul_i32 s26, s23, s27
	s_add_co_ci_u32 s27, s14, 0
	s_delay_alu instid0(SALU_CYCLE_1) | instskip(NEXT) | instid1(SALU_CYCLE_1)
	s_add_nc_u64 s[26:27], s[10:11], s[26:27]
	s_add_co_u32 s22, s22, s26
	s_cselect_b32 s3, -1, 0
	s_delay_alu instid0(SALU_CYCLE_1) | instskip(SKIP_1) | instid1(SALU_CYCLE_1)
	s_cmp_lg_u32 s3, 0
	s_add_co_ci_u32 s23, s23, s27
	s_mul_u64 s[24:25], s[24:25], s[22:23]
	s_delay_alu instid0(SALU_CYCLE_1)
	s_mul_hi_u32 s27, s22, s25
	s_mul_i32 s26, s22, s25
	s_mul_hi_u32 s10, s22, s24
	s_mul_i32 s7, s23, s24
	s_add_nc_u64 s[26:27], s[10:11], s[26:27]
	s_mul_hi_u32 s3, s23, s24
	s_mul_hi_u32 s14, s23, s25
	s_add_co_u32 s7, s26, s7
	s_add_co_ci_u32 s10, s27, s3
	s_mul_i32 s24, s23, s25
	s_add_co_ci_u32 s25, s14, 0
	s_delay_alu instid0(SALU_CYCLE_1) | instskip(NEXT) | instid1(SALU_CYCLE_1)
	s_add_nc_u64 s[24:25], s[10:11], s[24:25]
	s_add_co_u32 s3, s22, s24
	s_cselect_b32 s7, -1, 0
	s_delay_alu instid0(SALU_CYCLE_1) | instskip(SKIP_2) | instid1(SALU_CYCLE_1)
	s_cmp_lg_u32 s7, 0
	s_add_co_ci_u32 s7, s23, s25
	s_ashr_i32 s22, s9, 31
	s_mov_b32 s23, s22
	s_delay_alu instid0(SALU_CYCLE_1) | instskip(NEXT) | instid1(SALU_CYCLE_1)
	s_add_nc_u64 s[24:25], s[8:9], s[22:23]
	s_xor_b64 s[24:25], s[24:25], s[22:23]
	s_delay_alu instid0(SALU_CYCLE_1)
	s_mul_hi_u32 s27, s24, s7
	s_mul_i32 s26, s24, s7
	s_mul_hi_u32 s10, s24, s3
	s_mul_hi_u32 s14, s25, s3
	s_mul_i32 s3, s25, s3
	s_add_nc_u64 s[26:27], s[10:11], s[26:27]
	s_mul_hi_u32 s9, s25, s7
	s_add_co_u32 s3, s26, s3
	s_add_co_ci_u32 s10, s27, s14
	s_mul_i32 s28, s25, s7
	s_add_co_ci_u32 s29, s9, 0
	s_delay_alu instid0(SALU_CYCLE_1) | instskip(NEXT) | instid1(SALU_CYCLE_1)
	s_add_nc_u64 s[26:27], s[10:11], s[28:29]
	s_and_b64 s[28:29], s[26:27], 0xffffffff00000000
	s_delay_alu instid0(SALU_CYCLE_1) | instskip(NEXT) | instid1(SALU_CYCLE_1)
	s_or_b32 s28, s28, s26
	s_mul_u64 s[26:27], s[12:13], s[28:29]
	s_add_nc_u64 s[30:31], s[28:29], 1
	s_sub_co_u32 s3, s24, s26
	s_cselect_b32 s7, -1, 0
	s_sub_co_i32 s9, s25, s27
	s_cmp_lg_u32 s7, 0
	s_add_nc_u64 s[34:35], s[28:29], 2
	s_sub_co_ci_u32 s9, s9, s13
	s_sub_co_u32 s10, s3, s12
	s_cselect_b32 s14, -1, 0
	s_delay_alu instid0(SALU_CYCLE_1) | instskip(SKIP_1) | instid1(SALU_CYCLE_1)
	s_cmp_lg_u32 s14, 0
	s_sub_co_ci_u32 s9, s9, 0
	s_cmp_ge_u32 s9, s13
	s_cselect_b32 s14, -1, 0
	s_cmp_ge_u32 s10, s12
	s_cselect_b32 s10, -1, 0
	s_cmp_eq_u32 s9, s13
	s_cselect_b32 s9, s10, s14
	s_delay_alu instid0(SALU_CYCLE_1) | instskip(SKIP_4) | instid1(SALU_CYCLE_1)
	s_cmp_lg_u32 s9, 0
	s_cselect_b32 s9, s34, s30
	s_cselect_b32 s10, s35, s31
	s_cmp_lg_u32 s7, 0
	s_sub_co_ci_u32 s7, s25, s27
	s_cmp_ge_u32 s7, s13
	s_cselect_b32 s14, -1, 0
	s_cmp_ge_u32 s3, s12
	s_cselect_b32 s3, -1, 0
	s_cmp_eq_u32 s7, s13
	s_cselect_b32 s3, s3, s14
	s_delay_alu instid0(SALU_CYCLE_1) | instskip(SKIP_3) | instid1(SALU_CYCLE_1)
	s_cmp_lg_u32 s3, 0
	s_cselect_b32 s13, s10, s29
	s_cselect_b32 s12, s9, s28
	s_xor_b64 s[22:23], s[22:23], 0
	s_xor_b64 s[12:13], s[12:13], s[22:23]
	s_delay_alu instid0(SALU_CYCLE_1)
	s_sub_nc_u64 s[24:25], s[12:13], s[22:23]
	s_load_b96 s[12:14], s[0:1], 0x44
	s_cbranch_execnz .LBB22_6
.LBB22_5:
	v_cvt_f32_u32_e32 v1, s16
	s_sub_co_i32 s7, 0, s16
	s_delay_alu instid0(VALU_DEP_1) | instskip(SKIP_1) | instid1(TRANS32_DEP_1)
	v_rcp_iflag_f32_e32 v1, v1
	v_nop
	v_mul_f32_e32 v1, 0x4f7ffffe, v1
	s_delay_alu instid0(VALU_DEP_1) | instskip(NEXT) | instid1(VALU_DEP_1)
	v_cvt_u32_f32_e32 v1, v1
	v_readfirstlane_b32 s3, v1
	s_mul_i32 s7, s7, s3
	s_delay_alu instid0(SALU_CYCLE_1) | instskip(NEXT) | instid1(SALU_CYCLE_1)
	s_mul_hi_u32 s7, s3, s7
	s_add_co_i32 s3, s3, s7
	s_delay_alu instid0(SALU_CYCLE_1) | instskip(NEXT) | instid1(SALU_CYCLE_1)
	s_mul_hi_u32 s3, s8, s3
	s_mul_i32 s7, s3, s16
	s_delay_alu instid0(SALU_CYCLE_1)
	s_sub_co_i32 s7, s8, s7
	s_add_co_i32 s8, s3, 1
	s_sub_co_i32 s9, s7, s16
	s_cmp_ge_u32 s7, s16
	s_cselect_b32 s3, s8, s3
	s_cselect_b32 s7, s9, s7
	s_add_co_i32 s8, s3, 1
	s_cmp_ge_u32 s7, s16
	s_cselect_b32 s24, s8, s3
.LBB22_6:
	s_delay_alu instid0(SALU_CYCLE_1)
	s_cmp_eq_u32 s20, s24
	s_mov_b64 s[8:9], 0xffffffff
	s_cselect_b32 s3, -1, 0
	s_and_b64 s[8:9], s[20:21], s[8:9]
	s_mov_b32 s23, 0
	s_wait_kmcnt 0x0
	s_mov_b32 s22, s12
	s_mov_b32 s25, s23
	s_mul_u64 s[10:11], s[8:9], s[22:23]
	s_delay_alu instid0(SALU_CYCLE_1) | instskip(SKIP_2) | instid1(SALU_CYCLE_1)
	s_add_co_i32 s7, s11, s20
	s_mul_u64 s[10:11], s[24:25], s[22:23]
	s_lshr_b32 s12, s7, s13
	s_mul_i32 s7, s12, s14
	s_delay_alu instid0(SALU_CYCLE_1) | instskip(SKIP_2) | instid1(SALU_CYCLE_1)
	s_cmp_eq_u32 s7, s20
	s_cselect_b32 s7, -1, 0
	s_add_co_i32 s10, s11, s24
	s_lshr_b32 s10, s10, s13
	s_delay_alu instid0(SALU_CYCLE_1)
	s_cmp_eq_u32 s12, s10
	s_mul_i32 s10, s10, s14
	s_cselect_b32 s11, -1, 0
	s_cmp_lg_u32 s10, s24
	s_cselect_b32 s10, -1, 0
	s_or_b32 s3, s3, s7
	s_and_b32 s10, s11, s10
	s_delay_alu instid0(SALU_CYCLE_1) | instskip(NEXT) | instid1(SALU_CYCLE_1)
	s_or_b32 s3, s3, s10
	s_and_b32 vcc_lo, exec_lo, s3
	s_cbranch_vccnz .LBB22_24
; %bb.7:
	s_load_b256 s[24:31], s[0:1], 0x20
	s_bfe_u32 s7, ttmp6, 0x40014
	s_bfe_u32 s33, ttmp6, 0x40010
	s_lshr_b32 s3, ttmp7, 16
	s_add_co_i32 s7, s7, 1
	s_and_b32 s21, ttmp7, 0xffff
	s_add_co_i32 s33, s33, 1
	s_bfe_u32 s10, ttmp6, 0x40008
	s_mul_i32 s7, s3, s7
	s_bfe_u32 s34, ttmp6, 0x40004
	s_mul_i32 s33, s21, s33
	s_mov_b32 s11, s23
	s_add_co_i32 s7, s10, s7
	s_add_co_i32 s34, s34, s33
	s_cmp_eq_u32 s15, 0
	s_cselect_b32 s15, s21, s34
	s_cselect_b32 s3, s3, s7
	s_wait_kmcnt 0x0
	s_mov_b32 s10, s24
	s_delay_alu instid0(SALU_CYCLE_1) | instskip(SKIP_2) | instid1(SALU_CYCLE_1)
	s_mul_u64 s[8:9], s[8:9], s[10:11]
	s_load_b32 s8, s[0:1], 0x40
	s_add_co_i32 s7, s9, s20
	s_lshr_b32 s7, s7, s25
	s_delay_alu instid0(SALU_CYCLE_1) | instskip(NEXT) | instid1(SALU_CYCLE_1)
	s_mul_i32 s9, s7, s26
	s_sub_co_i32 s9, s20, s9
	s_delay_alu instid0(SALU_CYCLE_1) | instskip(NEXT) | instid1(SALU_CYCLE_1)
	s_mul_hi_u32 s10, s9, s27
	s_add_co_i32 s10, s9, s10
	s_delay_alu instid0(SALU_CYCLE_1) | instskip(NEXT) | instid1(SALU_CYCLE_1)
	s_lshr_b32 s21, s10, s28
	s_mul_i32 s10, s21, s29
	s_delay_alu instid0(SALU_CYCLE_1) | instskip(NEXT) | instid1(SALU_CYCLE_1)
	s_sub_co_i32 s10, s9, s10
	s_mul_hi_u32 s9, s10, s30
	s_delay_alu instid0(SALU_CYCLE_1) | instskip(NEXT) | instid1(SALU_CYCLE_1)
	s_add_co_i32 s9, s10, s9
	s_lshr_b32 s25, s9, s31
	s_mov_b32 s9, s23
	s_wait_kmcnt 0x0
	s_mul_i32 s8, s25, s8
	s_delay_alu instid0(SALU_CYCLE_1) | instskip(NEXT) | instid1(SALU_CYCLE_1)
	s_sub_co_i32 s8, s10, s8
	s_mul_u64 s[10:11], s[8:9], s[22:23]
	s_delay_alu instid0(SALU_CYCLE_1) | instskip(NEXT) | instid1(SALU_CYCLE_1)
	s_add_co_i32 s8, s8, s11
	s_lshr_b32 s24, s8, s13
	s_delay_alu instid0(SALU_CYCLE_1) | instskip(NEXT) | instid1(SALU_CYCLE_1)
	s_lshl_b32 s8, s24, 5
	s_add_co_i32 s8, s8, s15
	s_delay_alu instid0(SALU_CYCLE_1) | instskip(SKIP_2) | instid1(SALU_CYCLE_1)
	s_cmp_lt_i32 s8, s4
	s_cselect_b32 s8, -1, 0
	s_add_co_i32 s25, s25, s3
	s_cmp_lt_i32 s25, s6
	s_cselect_b32 s9, -1, 0
	s_delay_alu instid0(SALU_CYCLE_1) | instskip(NEXT) | instid1(SALU_CYCLE_1)
	s_and_b32 s8, s8, s9
	s_and_not1_b32 vcc_lo, exec_lo, s8
	s_cbranch_vccnz .LBB22_24
; %bb.8:
	s_load_b128 s[8:11], s[0:1], 0x0
	s_wait_xcnt 0x0
	s_mul_i32 s0, s7, s4
	s_mul_i32 s21, s21, s6
	s_add_co_i32 s0, s0, s15
	s_add_co_i32 s1, s25, s21
	s_mul_i32 s0, s0, s5
	s_mul_i32 s4, s5, s24
	s_add_co_i32 s0, s1, s0
	s_mulk_i32 s4, 0xe00
	s_mulk_i32 s0, 0x70
	s_add_co_i32 s15, s15, s3
	v_add3_u32 v2, s4, s0, v0
	s_add_nc_u64 s[0:1], s[16:17], 0
	v_cvt_f32_u32_e32 v4, s16
	s_xor_b64 s[6:7], s[0:1], 0
	s_lshl_b32 s0, s2, 5
	s_cvt_f32_u32 s3, s6
	s_cvt_f32_u32 s4, s7
	s_add_co_i32 s0, s0, s15
	v_rcp_iflag_f32_e32 v4, v4
	s_wait_kmcnt 0x0
	global_load_b32 v1, v2, s[8:9] scale_offset
	s_fmamk_f32 s3, s4, 0x4f800000, s3
	s_ashr_i32 s1, s0, 31
	s_lshl_b32 s24, s16, 7
	s_lshl_b64 s[0:1], s[0:1], 3
	v_s_rcp_f32 s3, s3
	s_add_nc_u64 s[0:1], s[10:11], s[0:1]
	s_mov_b32 s25, 0
	s_load_b64 s[28:29], s[0:1], 0x0
	v_mad_u32 v6, 0x70, s15, v0
	v_dual_mul_f32 v4, 0x4f7ffffe, v4 :: v_dual_ashrrev_i32 v3, 31, v2
	s_wait_xcnt 0x0
	s_lshl_b64 s[0:1], s[24:25], 2
	s_mul_f32 s3, s3, 0x5f7ffffc
	s_add_nc_u64 s[26:27], s[10:11], s[0:1]
	v_lshl_add_u64 v[2:3], v[2:3], 2, s[8:9]
	v_cvt_u32_f32_e32 v7, v4
	s_mul_f32 s4, s3, 0x2f800000
	s_mov_b64 s[8:9], 0xffffffff
	s_add_co_i32 s36, s2, -1
	s_sub_nc_u64 s[34:35], 0, s[6:7]
	s_trunc_f32 s4, s4
	s_delay_alu instid0(SALU_CYCLE_3)
	s_fmamk_f32 s0, s4, 0xcf800000, s3
	s_cvt_u32_f32 s31, s4
	s_wait_kmcnt 0x0
	v_mov_b32_e32 v0, s29
	s_cvt_u32_f32 s30, s0
.LBB22_9:                               ; =>This Inner Loop Header: Depth=1
	s_ashr_i32 s37, s36, 31
                                        ; implicit-def: $sgpr40_sgpr41
	s_delay_alu instid0(SALU_CYCLE_1) | instskip(NEXT) | instid1(SALU_CYCLE_1)
	s_mul_u64 s[0:1], s[36:37], s[18:19]
	s_and_b64 s[2:3], s[0:1], 0xffffffff00000000
	s_delay_alu instid0(SALU_CYCLE_1)
	s_cmp_lg_u64 s[2:3], 0
	s_mov_b32 s2, -1
	s_cbranch_scc0 .LBB22_11
; %bb.10:                               ;   in Loop: Header=BB22_9 Depth=1
	s_mul_u64 s[2:3], s[34:35], s[30:31]
	s_delay_alu instid0(SALU_CYCLE_1)
	s_mul_hi_u32 s5, s30, s3
	s_mul_i32 s4, s30, s3
	s_mul_hi_u32 s24, s30, s2
	s_mul_hi_u32 s17, s31, s2
	s_add_nc_u64 s[4:5], s[24:25], s[4:5]
	s_mul_i32 s2, s31, s2
	s_mul_hi_u32 s21, s31, s3
	s_add_co_u32 s2, s4, s2
	s_add_co_ci_u32 s24, s5, s17
	s_add_co_ci_u32 s5, s21, 0
	s_mul_i32 s4, s31, s3
	s_delay_alu instid0(SALU_CYCLE_1) | instskip(NEXT) | instid1(SALU_CYCLE_1)
	s_add_nc_u64 s[2:3], s[24:25], s[4:5]
	s_add_co_u32 s2, s30, s2
	s_cselect_b32 s4, -1, 0
	s_delay_alu instid0(SALU_CYCLE_1) | instskip(SKIP_1) | instid1(SALU_CYCLE_1)
	s_cmp_lg_u32 s4, 0
	s_add_co_ci_u32 s3, s31, s3
	s_mul_u64 s[4:5], s[34:35], s[2:3]
	s_delay_alu instid0(SALU_CYCLE_1)
	s_mul_hi_u32 s39, s2, s5
	s_mul_i32 s38, s2, s5
	s_mul_hi_u32 s24, s2, s4
	s_mul_hi_u32 s17, s3, s4
	s_mul_i32 s4, s3, s4
	s_add_nc_u64 s[38:39], s[24:25], s[38:39]
	s_mul_hi_u32 s21, s3, s5
	s_add_co_u32 s4, s38, s4
	s_add_co_ci_u32 s24, s39, s17
	s_mul_i32 s4, s3, s5
	s_add_co_ci_u32 s5, s21, 0
	s_delay_alu instid0(SALU_CYCLE_1) | instskip(NEXT) | instid1(SALU_CYCLE_1)
	s_add_nc_u64 s[4:5], s[24:25], s[4:5]
	s_add_co_u32 s17, s2, s4
	s_cselect_b32 s2, -1, 0
	s_delay_alu instid0(SALU_CYCLE_1) | instskip(SKIP_2) | instid1(SALU_CYCLE_1)
	s_cmp_lg_u32 s2, 0
	s_add_co_ci_u32 s21, s3, s5
	s_ashr_i32 s2, s1, 31
	s_mov_b32 s3, s2
	s_delay_alu instid0(SALU_CYCLE_1) | instskip(NEXT) | instid1(SALU_CYCLE_1)
	s_add_nc_u64 s[4:5], s[0:1], s[2:3]
	s_xor_b64 s[4:5], s[4:5], s[2:3]
	s_delay_alu instid0(SALU_CYCLE_1)
	s_mul_hi_u32 s39, s4, s21
	s_mul_i32 s38, s4, s21
	s_mul_hi_u32 s24, s4, s17
	s_mul_hi_u32 s29, s5, s17
	s_mul_i32 s17, s5, s17
	s_add_nc_u64 s[38:39], s[24:25], s[38:39]
	s_mul_hi_u32 s1, s5, s21
	s_add_co_u32 s17, s38, s17
	s_add_co_ci_u32 s24, s39, s29
	s_mul_i32 s40, s5, s21
	s_add_co_ci_u32 s41, s1, 0
	s_delay_alu instid0(SALU_CYCLE_1) | instskip(NEXT) | instid1(SALU_CYCLE_1)
	s_add_nc_u64 s[38:39], s[24:25], s[40:41]
	s_and_b64 s[40:41], s[38:39], 0xffffffff00000000
	s_delay_alu instid0(SALU_CYCLE_1) | instskip(NEXT) | instid1(SALU_CYCLE_1)
	s_or_b32 s40, s40, s38
	s_mul_u64 s[38:39], s[6:7], s[40:41]
	s_add_nc_u64 s[42:43], s[40:41], 1
	s_sub_co_u32 s1, s4, s38
	s_cselect_b32 s4, -1, 0
	s_sub_co_i32 s17, s5, s39
	s_cmp_lg_u32 s4, 0
	s_add_nc_u64 s[44:45], s[40:41], 2
	s_sub_co_ci_u32 s17, s17, s7
	s_sub_co_u32 s21, s1, s6
	s_cselect_b32 s24, -1, 0
	s_delay_alu instid0(SALU_CYCLE_1) | instskip(SKIP_1) | instid1(SALU_CYCLE_1)
	s_cmp_lg_u32 s24, 0
	s_sub_co_ci_u32 s17, s17, 0
	s_cmp_ge_u32 s17, s7
	s_cselect_b32 s24, -1, 0
	s_cmp_ge_u32 s21, s6
	s_cselect_b32 s21, -1, 0
	s_cmp_eq_u32 s17, s7
	s_cselect_b32 s17, s21, s24
	s_delay_alu instid0(SALU_CYCLE_1) | instskip(SKIP_4) | instid1(SALU_CYCLE_1)
	s_cmp_lg_u32 s17, 0
	s_cselect_b32 s17, s44, s42
	s_cselect_b32 s21, s45, s43
	s_cmp_lg_u32 s4, 0
	s_sub_co_ci_u32 s4, s5, s39
	s_cmp_ge_u32 s4, s7
	s_cselect_b32 s5, -1, 0
	s_cmp_ge_u32 s1, s6
	s_cselect_b32 s1, -1, 0
	s_cmp_eq_u32 s4, s7
	s_cselect_b32 s1, s1, s5
	s_delay_alu instid0(SALU_CYCLE_1) | instskip(SKIP_3) | instid1(SALU_CYCLE_1)
	s_cmp_lg_u32 s1, 0
	s_cselect_b32 s5, s21, s41
	s_cselect_b32 s4, s17, s40
	s_xor_b64 s[2:3], s[2:3], 0
	s_xor_b64 s[4:5], s[4:5], s[2:3]
	s_delay_alu instid0(SALU_CYCLE_1)
	s_sub_nc_u64 s[40:41], s[4:5], s[2:3]
	s_mov_b32 s2, 0
.LBB22_11:                              ;   in Loop: Header=BB22_9 Depth=1
	s_delay_alu instid0(SALU_CYCLE_1)
	s_and_not1_b32 vcc_lo, exec_lo, s2
	s_cbranch_vccnz .LBB22_13
; %bb.12:                               ;   in Loop: Header=BB22_9 Depth=1
	v_readfirstlane_b32 s1, v7
	s_sub_co_i32 s2, 0, s16
	s_delay_alu instid0(SALU_CYCLE_1) | instskip(NEXT) | instid1(SALU_CYCLE_1)
	s_mul_i32 s2, s2, s1
	s_mul_hi_u32 s2, s1, s2
	s_delay_alu instid0(SALU_CYCLE_1) | instskip(NEXT) | instid1(SALU_CYCLE_1)
	s_add_co_i32 s1, s1, s2
	s_mul_hi_u32 s1, s0, s1
	s_delay_alu instid0(SALU_CYCLE_1) | instskip(NEXT) | instid1(SALU_CYCLE_1)
	s_mul_i32 s2, s1, s16
	s_sub_co_i32 s0, s0, s2
	s_add_co_i32 s2, s1, 1
	s_sub_co_i32 s3, s0, s16
	s_cmp_ge_u32 s0, s16
	s_cselect_b32 s1, s2, s1
	s_cselect_b32 s0, s3, s0
	s_add_co_i32 s2, s1, 1
	s_cmp_ge_u32 s0, s16
	s_cselect_b32 s24, s2, s1
	s_delay_alu instid0(SALU_CYCLE_1)
	s_mov_b64 s[40:41], s[24:25]
.LBB22_13:                              ;   in Loop: Header=BB22_9 Depth=1
	s_delay_alu instid0(SALU_CYCLE_1)
	s_cmp_lg_u32 s20, s40
	s_mov_b32 s0, -1
                                        ; implicit-def: $vgpr4_vgpr5
                                        ; implicit-def: $sgpr24
                                        ; implicit-def: $sgpr17
                                        ; implicit-def: $sgpr21
                                        ; implicit-def: $sgpr29
	s_cbranch_scc0 .LBB22_18
; %bb.14:                               ;   in Loop: Header=BB22_9 Depth=1
	s_add_co_i32 s0, s36, s16
	v_max_num_f32_e64 v4, s28, s28
	s_lshl_b32 s0, s0, 5
	s_mov_b32 s29, s20
	s_add_co_i32 s0, s0, s15
	s_load_b64 s[38:39], s[10:11], s0 offset:0x0 scale_offset
	s_wait_xcnt 0x0
	v_readfirstlane_b32 s0, v4
	s_wait_kmcnt 0x0
	v_max_num_f32_e64 v5, s38, s38
	s_delay_alu instid0(VALU_DEP_1) | instskip(SKIP_1) | instid1(SALU_CYCLE_3)
	v_readfirstlane_b32 s1, v5
	s_max_num_f32 s17, s0, s1
	s_sub_f32 s33, s28, s17
	s_sub_f32 s37, s38, s17
	s_delay_alu instid0(SALU_CYCLE_2)
	s_cmp_nlt_f32 s33, 0xc2ce8ed0
	s_cselect_b32 s1, -1, 0
	s_cmp_ngt_f32 s33, 0x42b17218
	s_cselect_b32 s2, -1, 0
	s_cmp_ge_f32 s33, 0xc1a00000
	s_cselect_b32 s0, -1, 0
	s_cmp_nlt_f32 s37, 0xc2ce8ed0
	s_cselect_b32 s3, -1, 0
	s_cmp_ngt_f32 s37, 0x42b17218
	s_cselect_b32 s4, -1, 0
	s_cmp_ge_f32 s37, 0xc1a00000
	s_cselect_b32 s5, -1, 0
	s_and_b64 s[42:43], s[40:41], s[8:9]
	s_delay_alu instid0(SALU_CYCLE_1) | instskip(NEXT) | instid1(SALU_CYCLE_1)
	s_mul_u64 s[42:43], s[42:43], s[22:23]
	s_add_co_i32 s21, s43, s40
	s_delay_alu instid0(SALU_CYCLE_1) | instskip(NEXT) | instid1(SALU_CYCLE_1)
	s_lshr_b32 s21, s21, s13
	s_mul_i32 s24, s21, s14
	s_delay_alu instid0(SALU_CYCLE_1) | instskip(SKIP_3) | instid1(SALU_CYCLE_1)
	s_cmp_eq_u32 s24, s40
	s_cselect_b32 s24, -1, 0
	s_cmp_lt_u32 s21, s12
	s_cselect_b32 s21, -1, 0
	s_or_b32 s21, s21, s24
	s_mov_b32 s24, -1
	s_and_b32 vcc_lo, exec_lo, s21
	s_mov_b32 s21, s36
	s_cbranch_vccnz .LBB22_16
; %bb.15:                               ;   in Loop: Header=BB22_9 Depth=1
	s_add_co_i32 s21, s36, -1
	s_mov_b32 s24, 0
	s_mov_b32 s29, s40
.LBB22_16:                              ;   in Loop: Header=BB22_9 Depth=1
	v_mad_u32 v4, 0xe00, s36, v6
	s_mul_f32 s40, s33, 0x3fb8aa3b
	s_mul_f32 s38, s37, 0x3fb8aa3b
	s_delay_alu instid0(SALU_CYCLE_2)
	s_xor_b32 s42, s40, 0x80000000
	s_rndne_f32 s44, s40
	s_fmamk_f32 s42, s33, 0x3fb8aa3b, s42
	s_xor_b32 s41, s38, 0x80000000
	s_rndne_f32 s43, s38
	s_sub_f32 s40, s40, s44
	global_load_b32 v5, v4, s[26:27] scale_offset
	s_fmamk_f32 s33, s33, 0x32a5705f, s42
	s_fmamk_f32 s41, s37, 0x3fb8aa3b, s41
	s_sub_f32 s38, s38, s43
	s_delay_alu instid0(SALU_CYCLE_1) | instskip(NEXT) | instid1(SALU_CYCLE_1)
	s_add_f32 s33, s40, s33
	s_fmamk_f32 s37, s37, 0x32a5705f, s41
	s_cvt_i32_f32 s40, s44
	s_delay_alu instid0(SALU_CYCLE_1) | instskip(NEXT) | instid1(SALU_CYCLE_1)
	v_s_exp_f32 s33, s33
	s_add_f32 s37, s38, s37
	s_cvt_i32_f32 s38, s43
	s_delay_alu instid0(SALU_CYCLE_2) | instskip(NEXT) | instid1(TRANS32_DEP_2)
	v_s_exp_f32 s37, s37
	v_ldexp_f32 v8, s33, s40
	s_wait_xcnt 0x0
	s_delay_alu instid0(TRANS32_DEP_1) | instskip(NEXT) | instid1(VALU_DEP_2)
	v_ldexp_f32 v4, s37, s38
	v_cndmask_b32_e64 v8, 0, v8, s1
	s_delay_alu instid0(VALU_DEP_1) | instskip(NEXT) | instid1(VALU_DEP_1)
	v_cndmask_b32_e64 v9, 0x7f800000, v8, s2
	v_dual_cndmask_b32 v4, 0, v4, s3 :: v_dual_cndmask_b32 v10, 0, v9, s0
	s_delay_alu instid0(VALU_DEP_1) | instskip(NEXT) | instid1(VALU_DEP_1)
	v_cndmask_b32_e64 v4, 0x7f800000, v4, s4
	v_dual_cndmask_b32 v8, 0, v4, s5 :: v_dual_mov_b32 v4, s39
	s_wait_loadcnt 0x0
	s_delay_alu instid0(VALU_DEP_1) | instskip(NEXT) | instid1(VALU_DEP_1)
	v_pk_mul_f32 v[4:5], v[4:5], v[8:9] op_sel_hi:[1,0]
	v_pk_fma_f32 v[4:5], v[0:1], v[10:11], v[4:5] op_sel_hi:[1,0,1]
	s_cbranch_execz .LBB22_19
.LBB22_17:                              ;   in Loop: Header=BB22_9 Depth=1
	s_and_not1_b32 vcc_lo, exec_lo, s24
	s_cbranch_vccnz .LBB22_20
	s_branch .LBB22_23
.LBB22_18:                              ;   in Loop: Header=BB22_9 Depth=1
	s_and_not1_b32 vcc_lo, exec_lo, s0
	s_cbranch_vccnz .LBB22_17
.LBB22_19:                              ;   in Loop: Header=BB22_9 Depth=1
	s_wait_loadcnt 0x0
	v_mov_b64_e32 v[4:5], v[0:1]
	s_add_co_i32 s21, s36, -1
	s_mov_b32 s29, s20
	s_mov_b32 s17, s28
	s_cbranch_execz .LBB22_23
.LBB22_20:                              ;   in Loop: Header=BB22_9 Depth=1
	s_wait_loadcnt 0x0
	s_delay_alu instid0(VALU_DEP_1)
	v_mov_b64_e32 v[0:1], v[4:5]
	s_mov_b32 s20, s29
	s_mov_b32 s36, s21
	;; [unrolled: 1-line block ×3, first 2 shown]
	s_branch .LBB22_9
.LBB22_21:
                                        ; implicit-def: $sgpr20_sgpr21
	s_branch .LBB22_2
.LBB22_22:
                                        ; implicit-def: $sgpr24_sgpr25
	s_load_b96 s[12:14], s[0:1], 0x44
	s_branch .LBB22_5
.LBB22_23:
	s_delay_alu instid0(VALU_DEP_1) | instskip(SKIP_1) | instid1(VALU_DEP_1)
	v_div_scale_f32 v0, null, v4, v4, v5
	s_wait_loadcnt 0x0
	v_rcp_f32_e32 v1, v0
	v_nop
	s_delay_alu instid0(TRANS32_DEP_1) | instskip(NEXT) | instid1(VALU_DEP_1)
	v_fma_f32 v6, -v0, v1, 1.0
	v_fmac_f32_e32 v1, v6, v1
	v_div_scale_f32 v6, vcc_lo, v5, v4, v5
	s_delay_alu instid0(VALU_DEP_1) | instskip(NEXT) | instid1(VALU_DEP_1)
	v_mul_f32_e32 v7, v6, v1
	v_fma_f32 v8, -v0, v7, v6
	s_delay_alu instid0(VALU_DEP_1) | instskip(NEXT) | instid1(VALU_DEP_1)
	v_fmac_f32_e32 v7, v8, v1
	v_fma_f32 v0, -v0, v7, v6
	s_delay_alu instid0(VALU_DEP_1) | instskip(NEXT) | instid1(VALU_DEP_1)
	v_div_fmas_f32 v0, v0, v1, v7
	v_div_fixup_f32 v0, v0, v4, v5
	global_store_b32 v[2:3], v0, off
.LBB22_24:
	s_endpgm
	.section	.rodata,"a",@progbits
	.p2align	6, 0x0
	.amdhsa_kernel _ZL33flash_attn_stream_k_fixup_generalILi112ELi32ELi1EEvPfPK15HIP_vector_typeIfLj2EEiiiiS1_IjLj3EES5_S5_S5_
		.amdhsa_group_segment_fixed_size 0
		.amdhsa_private_segment_fixed_size 0
		.amdhsa_kernarg_size 336
		.amdhsa_user_sgpr_count 2
		.amdhsa_user_sgpr_dispatch_ptr 0
		.amdhsa_user_sgpr_queue_ptr 0
		.amdhsa_user_sgpr_kernarg_segment_ptr 1
		.amdhsa_user_sgpr_dispatch_id 0
		.amdhsa_user_sgpr_kernarg_preload_length 0
		.amdhsa_user_sgpr_kernarg_preload_offset 0
		.amdhsa_user_sgpr_private_segment_size 0
		.amdhsa_wavefront_size32 1
		.amdhsa_uses_dynamic_stack 0
		.amdhsa_enable_private_segment 0
		.amdhsa_system_sgpr_workgroup_id_x 1
		.amdhsa_system_sgpr_workgroup_id_y 1
		.amdhsa_system_sgpr_workgroup_id_z 1
		.amdhsa_system_sgpr_workgroup_info 0
		.amdhsa_system_vgpr_workitem_id 0
		.amdhsa_next_free_vgpr 12
		.amdhsa_next_free_sgpr 46
		.amdhsa_named_barrier_count 0
		.amdhsa_reserve_vcc 1
		.amdhsa_float_round_mode_32 0
		.amdhsa_float_round_mode_16_64 0
		.amdhsa_float_denorm_mode_32 3
		.amdhsa_float_denorm_mode_16_64 3
		.amdhsa_fp16_overflow 0
		.amdhsa_memory_ordered 1
		.amdhsa_forward_progress 1
		.amdhsa_inst_pref_size 27
		.amdhsa_round_robin_scheduling 0
		.amdhsa_exception_fp_ieee_invalid_op 0
		.amdhsa_exception_fp_denorm_src 0
		.amdhsa_exception_fp_ieee_div_zero 0
		.amdhsa_exception_fp_ieee_overflow 0
		.amdhsa_exception_fp_ieee_underflow 0
		.amdhsa_exception_fp_ieee_inexact 0
		.amdhsa_exception_int_div_zero 0
	.end_amdhsa_kernel
	.section	.text._ZL33flash_attn_stream_k_fixup_generalILi112ELi32ELi1EEvPfPK15HIP_vector_typeIfLj2EEiiiiS1_IjLj3EES5_S5_S5_,"axG",@progbits,_ZL33flash_attn_stream_k_fixup_generalILi112ELi32ELi1EEvPfPK15HIP_vector_typeIfLj2EEiiiiS1_IjLj3EES5_S5_S5_,comdat
.Lfunc_end22:
	.size	_ZL33flash_attn_stream_k_fixup_generalILi112ELi32ELi1EEvPfPK15HIP_vector_typeIfLj2EEiiiiS1_IjLj3EES5_S5_S5_, .Lfunc_end22-_ZL33flash_attn_stream_k_fixup_generalILi112ELi32ELi1EEvPfPK15HIP_vector_typeIfLj2EEiiiiS1_IjLj3EES5_S5_S5_
                                        ; -- End function
	.set _ZL33flash_attn_stream_k_fixup_generalILi112ELi32ELi1EEvPfPK15HIP_vector_typeIfLj2EEiiiiS1_IjLj3EES5_S5_S5_.num_vgpr, 12
	.set _ZL33flash_attn_stream_k_fixup_generalILi112ELi32ELi1EEvPfPK15HIP_vector_typeIfLj2EEiiiiS1_IjLj3EES5_S5_S5_.num_agpr, 0
	.set _ZL33flash_attn_stream_k_fixup_generalILi112ELi32ELi1EEvPfPK15HIP_vector_typeIfLj2EEiiiiS1_IjLj3EES5_S5_S5_.numbered_sgpr, 46
	.set _ZL33flash_attn_stream_k_fixup_generalILi112ELi32ELi1EEvPfPK15HIP_vector_typeIfLj2EEiiiiS1_IjLj3EES5_S5_S5_.num_named_barrier, 0
	.set _ZL33flash_attn_stream_k_fixup_generalILi112ELi32ELi1EEvPfPK15HIP_vector_typeIfLj2EEiiiiS1_IjLj3EES5_S5_S5_.private_seg_size, 0
	.set _ZL33flash_attn_stream_k_fixup_generalILi112ELi32ELi1EEvPfPK15HIP_vector_typeIfLj2EEiiiiS1_IjLj3EES5_S5_S5_.uses_vcc, 1
	.set _ZL33flash_attn_stream_k_fixup_generalILi112ELi32ELi1EEvPfPK15HIP_vector_typeIfLj2EEiiiiS1_IjLj3EES5_S5_S5_.uses_flat_scratch, 0
	.set _ZL33flash_attn_stream_k_fixup_generalILi112ELi32ELi1EEvPfPK15HIP_vector_typeIfLj2EEiiiiS1_IjLj3EES5_S5_S5_.has_dyn_sized_stack, 0
	.set _ZL33flash_attn_stream_k_fixup_generalILi112ELi32ELi1EEvPfPK15HIP_vector_typeIfLj2EEiiiiS1_IjLj3EES5_S5_S5_.has_recursion, 0
	.set _ZL33flash_attn_stream_k_fixup_generalILi112ELi32ELi1EEvPfPK15HIP_vector_typeIfLj2EEiiiiS1_IjLj3EES5_S5_S5_.has_indirect_call, 0
	.section	.AMDGPU.csdata,"",@progbits
; Kernel info:
; codeLenInByte = 3344
; TotalNumSgprs: 48
; NumVgprs: 12
; ScratchSize: 0
; MemoryBound: 0
; FloatMode: 240
; IeeeMode: 1
; LDSByteSize: 0 bytes/workgroup (compile time only)
; SGPRBlocks: 0
; VGPRBlocks: 0
; NumSGPRsForWavesPerEU: 48
; NumVGPRsForWavesPerEU: 12
; NamedBarCnt: 0
; Occupancy: 16
; WaveLimiterHint : 0
; COMPUTE_PGM_RSRC2:SCRATCH_EN: 0
; COMPUTE_PGM_RSRC2:USER_SGPR: 2
; COMPUTE_PGM_RSRC2:TRAP_HANDLER: 0
; COMPUTE_PGM_RSRC2:TGID_X_EN: 1
; COMPUTE_PGM_RSRC2:TGID_Y_EN: 1
; COMPUTE_PGM_RSRC2:TGID_Z_EN: 1
; COMPUTE_PGM_RSRC2:TIDIG_COMP_CNT: 0
	.section	.text._ZL26flash_attn_combine_resultsILi112EEvPKfPK15HIP_vector_typeIfLj2EEPfi,"axG",@progbits,_ZL26flash_attn_combine_resultsILi112EEvPKfPK15HIP_vector_typeIfLj2EEPfi,comdat
	.globl	_ZL26flash_attn_combine_resultsILi112EEvPKfPK15HIP_vector_typeIfLj2EEPfi ; -- Begin function _ZL26flash_attn_combine_resultsILi112EEvPKfPK15HIP_vector_typeIfLj2EEPfi
	.p2align	8
	.type	_ZL26flash_attn_combine_resultsILi112EEvPKfPK15HIP_vector_typeIfLj2EEPfi,@function
_ZL26flash_attn_combine_resultsILi112EEvPKfPK15HIP_vector_typeIfLj2EEPfi: ; @_ZL26flash_attn_combine_resultsILi112EEvPKfPK15HIP_vector_typeIfLj2EEPfi
; %bb.0:
	s_clause 0x2
	s_load_b128 s[4:7], s[0:1], 0x0
	s_load_b96 s[8:10], s[0:1], 0x10
	s_load_b64 s[2:3], s[0:1], 0x20
	s_bfe_u32 s11, ttmp6, 0x4000c
	s_wait_xcnt 0x0
	s_and_b32 s0, ttmp6, 15
	s_add_co_i32 s11, s11, 1
	s_and_b32 s12, ttmp7, 0xffff
	s_mul_i32 s1, ttmp9, s11
	s_bfe_u32 s11, ttmp6, 0x40010
	s_bfe_u32 s13, ttmp6, 0x40014
	s_add_co_i32 s11, s11, 1
	s_add_co_i32 s0, s0, s1
	s_mul_i32 s1, s12, s11
	s_bfe_u32 s11, ttmp6, 0x40004
	s_lshr_b32 s14, ttmp7, 16
	s_add_co_i32 s13, s13, 1
	s_add_co_i32 s11, s11, s1
	s_mul_i32 s1, s14, s13
	s_bfe_u32 s13, ttmp6, 0x40008
	s_getreg_b32 s15, hwreg(HW_REG_IB_STS2, 6, 4)
	s_add_co_i32 s13, s13, s1
	s_cmp_eq_u32 s15, 0
	v_mov_b32_e32 v2, v0
	s_cselect_b32 s1, s14, s13
	s_cselect_b32 s0, ttmp9, s0
	s_wait_kmcnt 0x0
	s_mul_i32 s1, s2, s1
	s_cselect_b32 s2, s12, s11
	s_add_co_i32 s0, s1, s0
	s_lshl_b32 s12, s10, 1
	s_mul_i32 s11, s0, s3
	s_mov_b32 s13, exec_lo
	s_add_co_i32 s11, s11, s2
	s_delay_alu instid0(SALU_CYCLE_1)
	s_mul_i32 s2, s11, s10
	v_cmpx_gt_i32_e64 s12, v0
	s_cbranch_execz .LBB23_13
; %bb.1:
	v_xad_u32 v1, v0, -1, s12
	s_ashr_i32 s3, s2, 31
	s_mov_b32 s0, -1
	s_mov_b32 s14, exec_lo
	s_delay_alu instid0(VALU_DEP_1)
	v_cmpx_lt_u32_e32 0x6f, v1
	s_cbranch_execz .LBB23_10
; %bb.2:
	v_lshrrev_b32_e32 v1, 4, v1
	s_lshl_b64 s[0:1], s[2:3], 3
	v_mov_b32_e32 v4, 0
	s_add_nc_u64 s[0:1], s[6:7], s[0:1]
	s_delay_alu instid0(VALU_DEP_2) | instskip(SKIP_1) | instid1(VALU_DEP_2)
	v_mul_hi_u32 v6, 0x24924925, v1
	v_add_nc_u32_e32 v1, 0x70, v0
	v_add_nc_u32_e32 v2, -1, v6
	s_delay_alu instid0(VALU_DEP_1) | instskip(SKIP_1) | instid1(VALU_DEP_2)
	v_lshrrev_b32_e32 v3, 1, v2
	v_cmp_lt_u32_e32 vcc_lo, 13, v2
	v_add_nc_u32_e32 v7, 1, v3
	v_mov_b64_e32 v[2:3], v[0:1]
	s_and_saveexec_b32 s15, vcc_lo
	s_cbranch_execz .LBB23_6
; %bb.3:
	v_mov_b64_e32 v[2:3], v[0:1]
	v_dual_mov_b32 v5, 0 :: v_dual_bitop2_b32 v8, -8, v7 bitop3:0x40
	v_lshl_add_u32 v9, v0, 2, 0
	s_mov_b32 s16, 0
	s_mov_b32 s17, 0
.LBB23_4:                               ; =>This Inner Loop Header: Depth=1
	s_delay_alu instid0(VALU_DEP_2) | instskip(NEXT) | instid1(VALU_DEP_4)
	v_dual_mov_b32 v4, v2 :: v_dual_mov_b32 v11, v5
	v_dual_mov_b32 v13, v5 :: v_dual_add_nc_u32 v10, 0xe0, v3
	v_dual_mov_b32 v15, v5 :: v_dual_add_nc_u32 v12, 0x1c0, v3
	s_delay_alu instid0(VALU_DEP_3) | instskip(SKIP_1) | instid1(VALU_DEP_4)
	v_lshl_add_u64 v[24:25], v[4:5], 2, s[0:1]
	v_mov_b32_e32 v4, v3
	v_lshl_add_u64 v[10:11], v[10:11], 2, s[0:1]
	s_delay_alu instid0(VALU_DEP_4) | instskip(SKIP_1) | instid1(VALU_DEP_4)
	v_lshl_add_u64 v[12:13], v[12:13], 2, s[0:1]
	v_dual_mov_b32 v17, v5 :: v_dual_add_nc_u32 v14, 0x2a0, v3
	v_lshl_add_u64 v[26:27], v[4:5], 2, s[0:1]
	v_add_nc_u32_e32 v4, 0xe0, v2
	global_load_b32 v1, v[24:25], off
	v_dual_mov_b32 v19, v5 :: v_dual_add_nc_u32 v16, 0x380, v3
	global_load_b32 v28, v[26:27], off
	s_wait_xcnt 0x1
	v_lshl_add_u64 v[24:25], v[4:5], 2, s[0:1]
	v_add_nc_u32_e32 v4, 0x1c0, v2
	s_clause 0x1
	global_load_b32 v29, v[24:25], off
	global_load_b32 v30, v[10:11], off
	s_wait_xcnt 0x2
	v_lshl_add_u64 v[26:27], v[4:5], 2, s[0:1]
	v_add_nc_u32_e32 v4, 0x2a0, v2
	v_lshl_add_u64 v[14:15], v[14:15], 2, s[0:1]
	v_dual_mov_b32 v21, v5 :: v_dual_add_nc_u32 v18, 0x460, v3
	global_load_b32 v26, v[26:27], off
	s_wait_xcnt 0x1
	v_lshl_add_u64 v[10:11], v[4:5], 2, s[0:1]
	v_add_nc_u32_e32 v4, 0x380, v2
	global_load_b32 v27, v[12:13], off
	v_dual_mov_b32 v23, v5 :: v_dual_add_nc_u32 v20, 0x540, v3
	s_clause 0x1
	global_load_b32 v31, v[10:11], off
	global_load_b32 v32, v[14:15], off
	v_lshl_add_u64 v[24:25], v[4:5], 2, s[0:1]
	v_add_nc_u32_e32 v4, 0x460, v2
	v_add_nc_u32_e32 v22, 0x620, v3
	v_lshl_add_u64 v[16:17], v[16:17], 2, s[0:1]
	v_lshl_add_u64 v[18:19], v[18:19], 2, s[0:1]
	;; [unrolled: 1-line block ×3, first 2 shown]
	s_wait_xcnt 0x2
	v_lshl_add_u64 v[12:13], v[4:5], 2, s[0:1]
	v_add_nc_u32_e32 v4, 0x540, v2
	s_clause 0x2
	global_load_b32 v14, v[24:25], off
	global_load_b32 v15, v[16:17], off
	;; [unrolled: 1-line block ×3, first 2 shown]
	v_lshl_add_u64 v[22:23], v[22:23], 2, s[0:1]
	v_add_nc_u32_e32 v8, -8, v8
	v_lshl_add_u64 v[10:11], v[4:5], 2, s[0:1]
	v_add_nc_u32_e32 v4, 0x620, v2
	s_add_co_i32 s17, s17, 16
	v_add_nc_u32_e32 v3, 0x700, v3
	v_cmp_eq_u32_e32 vcc_lo, 0, v8
	v_add_nc_u32_e32 v2, 0x700, v2
	s_wait_xcnt 0x0
	v_lshl_add_u64 v[12:13], v[4:5], 2, s[0:1]
	s_clause 0x4
	global_load_b32 v16, v[18:19], off
	global_load_b32 v17, v[10:11], off
	;; [unrolled: 1-line block ×5, first 2 shown]
	s_wait_xcnt 0x3
	v_add_nc_u32_e32 v10, 0x200, v9
	v_add_nc_u32_e32 v11, 0x600, v9
	s_wait_xcnt 0x1
	v_add_nc_u32_e32 v12, 0xa00, v9
	v_dual_mov_b32 v4, s17 :: v_dual_add_nc_u32 v13, 0xc00, v9
	v_add_nc_u32_e32 v18, 0x1000, v9
	v_add_nc_u32_e32 v19, 0x1400, v9
	;; [unrolled: 1-line block ×3, first 2 shown]
	s_or_b32 s16, vcc_lo, s16
	s_wait_loadcnt 0xe
	ds_store_2addr_b32 v9, v1, v28 offset1:112
	v_add_nc_u32_e32 v9, 0x1c00, v9
	s_wait_loadcnt 0xc
	ds_store_2addr_b32 v10, v29, v30 offset0:96 offset1:208
	s_wait_loadcnt 0xa
	ds_store_2addr_b32 v11, v26, v27 offset0:64 offset1:176
	;; [unrolled: 2-line block ×7, first 2 shown]
	s_wait_xcnt 0x0
	s_and_not1_b32 exec_lo, exec_lo, s16
	s_cbranch_execnz .LBB23_4
; %bb.5:
	s_or_b32 exec_lo, exec_lo, s16
.LBB23_6:
	s_delay_alu instid0(SALU_CYCLE_1) | instskip(SKIP_3) | instid1(VALU_DEP_1)
	s_or_b32 exec_lo, exec_lo, s15
	v_and_b32_e32 v1, 7, v7
	s_mov_b32 s16, 0
	s_mov_b32 s15, exec_lo
	v_cmpx_ne_u32_e32 0, v1
	s_cbranch_execz .LBB23_9
; %bb.7:
	v_mul_lo_u32 v4, 0x1c0, v4
	v_lshlrev_b32_e32 v5, 2, v0
	s_delay_alu instid0(VALU_DEP_1)
	v_add3_u32 v7, v4, v5, 0
	v_mov_b32_e32 v5, 0
.LBB23_8:                               ; =>This Inner Loop Header: Depth=1
	v_dual_mov_b32 v4, v2 :: v_dual_add_nc_u32 v1, -1, v1
	v_add_nc_u32_e32 v2, 0xe0, v2
	s_delay_alu instid0(VALU_DEP_2) | instskip(SKIP_1) | instid1(VALU_DEP_4)
	v_lshl_add_u64 v[8:9], v[4:5], 2, s[0:1]
	v_dual_mov_b32 v4, v3 :: v_dual_add_nc_u32 v3, 0xe0, v3
	v_cmp_eq_u32_e32 vcc_lo, 0, v1
	s_delay_alu instid0(VALU_DEP_2)
	v_lshl_add_u64 v[10:11], v[4:5], 2, s[0:1]
	s_clause 0x1
	global_load_b32 v4, v[8:9], off
	global_load_b32 v12, v[10:11], off
	s_or_b32 s16, vcc_lo, s16
	s_wait_loadcnt 0x0
	ds_store_2addr_b32 v7, v4, v12 offset1:112
	v_add_nc_u32_e32 v7, 0x380, v7
	s_and_not1_b32 exec_lo, exec_lo, s16
	s_cbranch_execnz .LBB23_8
.LBB23_9:
	s_or_b32 exec_lo, exec_lo, s15
	v_add_nc_u32_e32 v1, 1, v6
	s_delay_alu instid0(VALU_DEP_1) | instskip(NEXT) | instid1(VALU_DEP_1)
	v_and_b32_e32 v3, 0x7fffffe, v1
	v_mad_u32 v2, 0x70, v3, v0
	v_cmp_ne_u32_e32 vcc_lo, v1, v3
	s_or_not1_b32 s0, vcc_lo, exec_lo
.LBB23_10:
	s_or_b32 exec_lo, exec_lo, s14
	s_delay_alu instid0(SALU_CYCLE_1)
	s_and_b32 exec_lo, exec_lo, s0
	s_cbranch_execz .LBB23_13
; %bb.11:
	v_mov_b32_e32 v3, 0
	s_lshl_b64 s[0:1], s[2:3], 3
	s_delay_alu instid0(VALU_DEP_3)
	v_lshl_add_u32 v1, v2, 2, 0
	s_add_nc_u64 s[0:1], s[6:7], s[0:1]
	s_delay_alu instid0(VALU_DEP_2) | instid1(SALU_CYCLE_1)
	v_lshl_add_u64 v[4:5], v[2:3], 2, s[0:1]
	s_mov_b32 s0, 0
.LBB23_12:                              ; =>This Inner Loop Header: Depth=1
	global_load_b32 v3, v[4:5], off
	v_add_nc_u32_e32 v2, 0x70, v2
	s_wait_xcnt 0x0
	v_add_nc_u64_e32 v[4:5], 0x1c0, v[4:5]
	s_delay_alu instid0(VALU_DEP_2)
	v_cmp_le_i32_e32 vcc_lo, s12, v2
	s_or_b32 s0, vcc_lo, s0
	s_wait_loadcnt 0x0
	ds_store_b32 v1, v3
	v_add_nc_u32_e32 v1, 0x1c0, v1
	s_and_not1_b32 exec_lo, exec_lo, s0
	s_cbranch_execnz .LBB23_12
.LBB23_13:
	s_or_b32 exec_lo, exec_lo, s13
	v_mov_b32_e32 v1, 0
	s_wait_dscnt 0x0
	s_barrier_signal -1
	s_barrier_wait -1
	ds_load_b32 v1, v1
	s_cmp_lt_i32 s10, 2
	s_wait_dscnt 0x0
	v_readfirstlane_b32 s6, v1
	s_cbranch_scc1 .LBB23_21
; %bb.14:
	s_cmp_eq_u32 s10, 2
	s_cbranch_scc1 .LBB23_18
; %bb.15:
	v_dual_mov_b32 v3, s6 :: v_dual_mov_b32 v4, s6
	s_add_co_i32 s1, s10, -1
	s_add_co_i32 s7, 0, 8
	s_and_b32 s3, s1, -2
	s_mov_b32 s6, 2
.LBB23_16:                              ; =>This Inner Loop Header: Depth=1
	v_dual_mov_b32 v1, s7 :: v_dual_mov_b32 v2, v3
	s_cmp_lg_u32 s3, s6
	s_cselect_b32 s12, -1, 0
	ds_load_2addr_b32 v[6:7], v1 offset1:2
	v_dual_mov_b32 v1, v4 :: v_dual_max_num_f32 v5, v2, v2
	s_delay_alu instid0(VALU_DEP_1)
	v_max_num_f32_e32 v3, v1, v1
	s_wait_dscnt 0x0
	v_cmp_u_f32_e32 vcc_lo, v7, v7
	v_max_num_f32_e32 v7, v7, v7
	v_cndmask_b32_e64 v4, 0, 1, vcc_lo
	v_cmp_u_f32_e32 vcc_lo, v6, v6
	v_max_num_f32_e32 v6, v6, v6
	s_delay_alu instid0(VALU_DEP_3) | instskip(SKIP_1) | instid1(VALU_DEP_3)
	v_readfirstlane_b32 s0, v4
	v_cndmask_b32_e64 v8, 0, 1, vcc_lo
	v_dual_max_num_f32 v4, v3, v7 :: v_dual_max_num_f32 v3, v5, v6
	s_lshl_b32 s0, s0, 1
	s_delay_alu instid0(VALU_DEP_2) | instskip(SKIP_1) | instid1(SALU_CYCLE_1)
	v_readfirstlane_b32 s13, v8
	s_or_b32 s0, s13, s0
	s_and_b32 s13, s0, 3
	s_delay_alu instid0(SALU_CYCLE_1)
	s_cmp_lg_u32 s13, 0
	s_cselect_b32 s0, -1, 0
	s_cmp_eq_u32 s13, 0
	s_cselect_b32 s13, -1, 0
	s_add_co_i32 s6, s6, 2
	s_and_b32 s12, s13, s12
	s_add_co_i32 s7, s7, 16
	s_and_b32 vcc_lo, exec_lo, s12
	s_cbranch_vccnz .LBB23_16
; %bb.17:
	v_dual_cndmask_b32 v2, v3, v2, s0 :: v_dual_cndmask_b32 v1, v4, v1, s0
	s_add_co_i32 s6, s6, -4
	s_and_b32 s7, s0, exec_lo
	s_cselect_b32 s6, s6, s1
	s_delay_alu instid0(VALU_DEP_1) | instskip(SKIP_3) | instid1(VALU_DEP_1)
	v_dual_max_num_f32 v2, v2, v2 :: v_dual_max_num_f32 v1, v1, v1
	s_or_b32 s7, s6, 1
	s_cmp_lg_u32 s1, s3
	s_cselect_b32 s1, -1, 0
	v_readfirstlane_b32 s12, v2
	v_readfirstlane_b32 s13, v1
	s_or_b32 s0, s1, s0
	s_max_num_f32 s6, s12, s13
	s_and_b32 vcc_lo, exec_lo, s0
	s_cbranch_vccnz .LBB23_19
	s_branch .LBB23_21
.LBB23_18:
	s_mov_b32 s7, 1
	s_cbranch_execz .LBB23_21
.LBB23_19:
	s_lshl_b32 s1, s7, 3
	s_sub_co_i32 s0, s10, s7
	s_add_co_i32 s1, s1, 0
.LBB23_20:                              ; =>This Inner Loop Header: Depth=1
	s_delay_alu instid0(SALU_CYCLE_1) | instskip(NEXT) | instid1(SALU_CYCLE_1)
	v_mov_b32_e32 v1, s1
	v_max_num_f32_e64 v2, s6, s6
	s_add_co_i32 s0, s0, -1
	s_add_co_i32 s1, s1, 8
	s_cmp_eq_u32 s0, 0
	ds_load_b32 v1, v1
	v_readfirstlane_b32 s3, v2
	s_wait_dscnt 0x0
	v_max_num_f32_e32 v1, v1, v1
	s_delay_alu instid0(VALU_DEP_1)
	v_readfirstlane_b32 s6, v1
	s_max_num_f32 s6, s3, s6
	s_cbranch_scc0 .LBB23_20
.LBB23_21:
	s_cmp_lt_i32 s10, 1
	s_cbranch_scc1 .LBB23_26
; %bb.22:
	s_mul_i32 s0, s2, 0x70
	s_delay_alu instid0(SALU_CYCLE_1)
	s_ashr_i32 s1, s0, 31
	s_cmp_lt_u32 s10, 8
	s_cbranch_scc1 .LBB23_27
; %bb.23:
	v_dual_mov_b32 v2, 0 :: v_dual_add_nc_u32 v1, 0x1c0, v0
	s_lshl_b64 s[2:3], s[0:1], 2
	s_and_b32 s7, s10, 0x7ffffff8
	s_add_nc_u64 s[2:3], s[4:5], s[2:3]
	s_delay_alu instid0(VALU_DEP_1)
	v_mov_b32_e32 v3, v2
	s_mov_b32 s12, 0
	s_mov_b32 s13, 0
.LBB23_24:                              ; =>This Inner Loop Header: Depth=1
	v_add_nc_u32_e32 v4, 0xfffffe40, v1
	v_dual_mov_b32 v16, s13 :: v_dual_add_nc_u32 v5, 0xfffffeb0, v1
	s_clause 0x1
	global_load_b32 v21, v4, s[2:3] scale_offset
	global_load_b32 v23, v5, s[2:3] scale_offset
	s_wait_xcnt 0x1
	v_add_nc_u32_e32 v4, 0xffffff20, v1
	s_wait_xcnt 0x0
	v_add_nc_u32_e32 v5, 0xffffff90, v1
	s_clause 0x2
	global_load_b32 v25, v4, s[2:3] scale_offset
	global_load_b32 v27, v5, s[2:3] scale_offset
	;; [unrolled: 1-line block ×3, first 2 shown]
	s_wait_xcnt 0x2
	v_add_nc_u32_e32 v4, 0x70, v1
	s_wait_xcnt 0x1
	v_add_nc_u32_e32 v5, 0xe0, v1
	global_load_b32 v31, v4, s[2:3] scale_offset
	s_wait_xcnt 0x0
	v_add_nc_u32_e32 v4, 0x150, v1
	s_clause 0x1
	global_load_b32 v33, v5, s[2:3] scale_offset
	global_load_b32 v35, v4, s[2:3] scale_offset
	s_wait_xcnt 0x0
	ds_load_2addr_b64 v[4:7], v16 offset1:1
	ds_load_2addr_b64 v[8:11], v16 offset0:2 offset1:3
	ds_load_2addr_b64 v[12:15], v16 offset0:4 offset1:5
	;; [unrolled: 1-line block ×3, first 2 shown]
	v_add_nc_u32_e32 v1, 0x380, v1
	s_wait_dscnt 0x3
	v_readfirstlane_b32 s14, v4
	v_readfirstlane_b32 s15, v6
	s_wait_dscnt 0x2
	v_readfirstlane_b32 s16, v8
	v_dual_mov_b32 v20, v5 :: v_dual_mov_b32 v26, v11
	s_sub_f32 s14, s14, s6
	s_sub_f32 s15, s15, s6
	;; [unrolled: 1-line block ×3, first 2 shown]
	v_readfirstlane_b32 s17, v10
	s_mul_f32 s22, s14, 0x3fb8aa3b
	s_mul_f32 s23, s15, 0x3fb8aa3b
	;; [unrolled: 1-line block ×3, first 2 shown]
	s_wait_dscnt 0x1
	v_readfirstlane_b32 s18, v12
	s_xor_b32 s30, s22, 0x80000000
	s_rndne_f32 s31, s22
	s_fmamk_f32 s30, s14, 0x3fb8aa3b, s30
	s_cmp_nlt_f32 s14, 0xc2ce8ed0
	s_rndne_f32 s33, s23
	s_sub_f32 s22, s22, s31
	s_fmamk_f32 s30, s14, 0x32a5705f, s30
	s_cvt_i32_f32 s31, s31
	s_cselect_b32 vcc_lo, -1, 0
	s_cmp_ngt_f32 s14, 0x42b17218
	s_add_f32 s22, s22, s30
	s_sub_f32 s40, s23, s33
	s_cvt_i32_f32 s33, s33
	s_rndne_f32 s34, s24
	v_s_exp_f32 s22, s22
	s_sub_f32 s17, s17, s6
	s_sub_f32 s18, s18, s6
	;; [unrolled: 1-line block ×3, first 2 shown]
	s_cvt_i32_f32 s34, s34
	s_mul_f32 s25, s17, 0x3fb8aa3b
	s_mul_f32 s26, s18, 0x3fb8aa3b
	v_readfirstlane_b32 s19, v14
	v_ldexp_f32 v4, s22, s31
	s_wait_dscnt 0x0
	v_mov_b32_e32 v32, v17
	s_rndne_f32 s35, s25
	s_rndne_f32 s36, s26
	s_sub_f32 s19, s19, s6
	v_cndmask_b32_e32 v4, 0, v4, vcc_lo
	s_cselect_b32 vcc_lo, -1, 0
	s_xor_b32 s14, s23, 0x80000000
	s_cmp_nlt_f32 s15, 0xc2ce8ed0
	s_fmamk_f32 s14, s15, 0x3fb8aa3b, s14
	v_cndmask_b32_e32 v4, 0x7f800000, v4, vcc_lo
	s_sub_f32 s42, s25, s35
	s_cselect_b32 vcc_lo, -1, 0
	s_fmamk_f32 s14, s15, 0x32a5705f, s14
	s_cmp_ngt_f32 s15, 0x42b17218
	s_cvt_i32_f32 s35, s35
	s_sub_f32 s43, s26, s36
	s_add_f32 s14, s40, s14
	s_cvt_i32_f32 s36, s36
	s_mul_f32 s27, s19, 0x3fb8aa3b
	v_readfirstlane_b32 s20, v16
	v_s_exp_f32 s14, s14
	v_readfirstlane_b32 s21, v18
	s_rndne_f32 s37, s27
	v_mov_b32_e32 v22, v7
	s_sub_f32 s20, s20, s6
	v_dual_mov_b32 v24, v9 :: v_dual_mov_b32 v34, v19
	s_sub_f32 s44, s27, s37
	s_delay_alu instid0(TRANS32_DEP_1)
	v_ldexp_f32 v5, s14, s33
	s_cvt_i32_f32 s37, s37
	s_mul_f32 s28, s20, 0x3fb8aa3b
	s_sub_f32 s21, s21, s6
	v_dual_mov_b32 v28, v13 :: v_dual_mov_b32 v30, v15
	v_cndmask_b32_e32 v5, 0, v5, vcc_lo
	s_cselect_b32 vcc_lo, -1, 0
	s_xor_b32 s14, s24, 0x80000000
	s_cmp_nlt_f32 s16, 0xc2ce8ed0
	s_fmamk_f32 s14, s16, 0x3fb8aa3b, s14
	v_cndmask_b32_e32 v6, 0x7f800000, v5, vcc_lo
	s_rndne_f32 s38, s28
	s_cselect_b32 vcc_lo, -1, 0
	s_fmamk_f32 s14, s16, 0x32a5705f, s14
	s_cmp_ngt_f32 s16, 0x42b17218
	s_sub_f32 s45, s28, s38
	s_cvt_i32_f32 s38, s38
	s_add_f32 s14, s41, s14
	s_mul_f32 s29, s21, 0x3fb8aa3b
	s_delay_alu instid0(SALU_CYCLE_2) | instskip(NEXT) | instid1(SALU_CYCLE_2)
	v_s_exp_f32 s14, s14
	s_rndne_f32 s39, s29
	s_delay_alu instid0(SALU_CYCLE_3) | instskip(SKIP_2) | instid1(TRANS32_DEP_1)
	s_sub_f32 s46, s29, s39
	s_cvt_i32_f32 s39, s39
	v_nop
	v_ldexp_f32 v5, s14, s34
	s_delay_alu instid0(VALU_DEP_1)
	v_cndmask_b32_e32 v5, 0, v5, vcc_lo
	s_cselect_b32 vcc_lo, -1, 0
	s_xor_b32 s14, s25, 0x80000000
	s_cmp_nlt_f32 s17, 0xc2ce8ed0
	s_fmamk_f32 s14, s17, 0x3fb8aa3b, s14
	v_cndmask_b32_e32 v8, 0x7f800000, v5, vcc_lo
	s_cselect_b32 vcc_lo, -1, 0
	s_delay_alu instid0(SALU_CYCLE_1) | instskip(SKIP_1) | instid1(SALU_CYCLE_2)
	s_fmamk_f32 s14, s17, 0x32a5705f, s14
	s_cmp_ngt_f32 s17, 0x42b17218
	s_add_f32 s14, s42, s14
	s_delay_alu instid0(SALU_CYCLE_3) | instskip(SKIP_1) | instid1(TRANS32_DEP_1)
	v_s_exp_f32 s14, s14
	v_nop
	v_ldexp_f32 v5, s14, s35
	s_delay_alu instid0(VALU_DEP_1)
	v_cndmask_b32_e32 v5, 0, v5, vcc_lo
	s_cselect_b32 vcc_lo, -1, 0
	s_xor_b32 s14, s26, 0x80000000
	s_cmp_nlt_f32 s18, 0xc2ce8ed0
	s_fmamk_f32 s14, s18, 0x3fb8aa3b, s14
	v_cndmask_b32_e32 v10, 0x7f800000, v5, vcc_lo
	s_cselect_b32 vcc_lo, -1, 0
	s_delay_alu instid0(SALU_CYCLE_1) | instskip(SKIP_1) | instid1(SALU_CYCLE_2)
	s_fmamk_f32 s14, s18, 0x32a5705f, s14
	s_cmp_ngt_f32 s18, 0x42b17218
	s_add_f32 s14, s43, s14
	s_delay_alu instid0(SALU_CYCLE_3) | instskip(SKIP_1) | instid1(TRANS32_DEP_1)
	v_s_exp_f32 s14, s14
	;; [unrolled: 16-line block ×4, first 2 shown]
	v_nop
	v_ldexp_f32 v5, s14, s38
	s_delay_alu instid0(VALU_DEP_1) | instskip(SKIP_4) | instid1(SALU_CYCLE_3)
	v_cndmask_b32_e32 v5, 0, v5, vcc_lo
	s_cselect_b32 vcc_lo, -1, 0
	s_xor_b32 s14, s29, 0x80000000
	s_cmp_nlt_f32 s21, 0xc2ce8ed0
	s_fmamk_f32 s14, s21, 0x3fb8aa3b, s14
	s_fmamk_f32 s14, s21, 0x32a5705f, s14
	s_delay_alu instid0(SALU_CYCLE_3) | instskip(NEXT) | instid1(SALU_CYCLE_3)
	s_add_f32 s14, s46, s14
	v_s_exp_f32 s14, s14
	s_wait_loadcnt 0x7
	v_pk_fma_f32 v[2:3], v[4:5], v[20:21], v[2:3] op_sel_hi:[0,1,1]
	v_cndmask_b32_e32 v4, 0x7f800000, v5, vcc_lo
	s_delay_alu instid0(TRANS32_DEP_1)
	v_ldexp_f32 v5, s14, s39
	s_cselect_b32 vcc_lo, -1, 0
	s_cmp_ngt_f32 s21, 0x42b17218
	s_wait_loadcnt 0x6
	v_pk_fma_f32 v[2:3], v[6:7], v[22:23], v[2:3] op_sel_hi:[0,1,1]
	v_cndmask_b32_e32 v5, 0, v5, vcc_lo
	s_cselect_b32 vcc_lo, -1, 0
	s_add_co_i32 s12, s12, 8
	s_wait_loadcnt 0x5
	v_pk_fma_f32 v[2:3], v[8:9], v[24:25], v[2:3] op_sel_hi:[0,1,1]
	s_add_co_i32 s13, s13, 64
	v_cndmask_b32_e32 v6, 0x7f800000, v5, vcc_lo
	s_cmp_eq_u32 s7, s12
	s_wait_loadcnt 0x4
	v_pk_fma_f32 v[2:3], v[10:11], v[26:27], v[2:3] op_sel_hi:[0,1,1]
	s_wait_loadcnt 0x3
	s_delay_alu instid0(VALU_DEP_1) | instskip(SKIP_1) | instid1(VALU_DEP_1)
	v_pk_fma_f32 v[2:3], v[12:13], v[28:29], v[2:3] op_sel_hi:[0,1,1]
	s_wait_loadcnt 0x2
	v_pk_fma_f32 v[2:3], v[14:15], v[30:31], v[2:3] op_sel_hi:[0,1,1]
	s_wait_loadcnt 0x1
	s_delay_alu instid0(VALU_DEP_1) | instskip(SKIP_1) | instid1(VALU_DEP_1)
	v_pk_fma_f32 v[2:3], v[4:5], v[32:33], v[2:3] op_sel_hi:[0,1,1]
	s_wait_loadcnt 0x0
	v_pk_fma_f32 v[2:3], v[6:7], v[34:35], v[2:3] op_sel_hi:[0,1,1]
	s_cbranch_scc0 .LBB23_24
; %bb.25:
	s_and_b32 s2, s10, 7
	s_delay_alu instid0(SALU_CYCLE_1)
	s_cmp_eq_u32 s2, 0
	s_cbranch_scc0 .LBB23_28
	s_branch .LBB23_30
.LBB23_26:
	v_mov_b32_e32 v1, 0x7fc00000
	s_branch .LBB23_31
.LBB23_27:
	v_mov_b64_e32 v[2:3], 0
	s_mov_b32 s7, 0
	s_and_b32 s2, s10, 7
	s_delay_alu instid0(SALU_CYCLE_1)
	s_cmp_eq_u32 s2, 0
	s_cbranch_scc1 .LBB23_30
.LBB23_28:
	v_mad_u32 v4, 0x70, s7, v0
	v_mov_b32_e32 v5, 0
	s_lshl_b64 s[0:1], s[0:1], 2
	s_delay_alu instid0(SALU_CYCLE_1)
	s_add_nc_u64 s[0:1], s[4:5], s[0:1]
	s_delay_alu instid0(VALU_DEP_1) | instid1(SALU_CYCLE_1)
	v_lshl_add_u64 v[4:5], v[4:5], 2, s[0:1]
	s_lshl_b32 s0, s7, 3
	s_delay_alu instid0(SALU_CYCLE_1)
	s_add_co_i32 s0, s0, 0
.LBB23_29:                              ; =>This Inner Loop Header: Depth=1
	global_load_b32 v7, v[4:5], off
	v_mov_b32_e32 v1, s0
	s_wait_xcnt 0x0
	v_add_nc_u64_e32 v[4:5], 0x1c0, v[4:5]
	ds_load_b64 v[8:9], v1
	s_wait_dscnt 0x0
	v_readfirstlane_b32 s1, v8
	v_mov_b32_e32 v6, v9
	s_sub_f32 s1, s1, s6
	s_delay_alu instid0(SALU_CYCLE_3) | instskip(NEXT) | instid1(SALU_CYCLE_3)
	s_mul_f32 s3, s1, 0x3fb8aa3b
	s_xor_b32 s4, s3, 0x80000000
	s_rndne_f32 s5, s3
	s_fmamk_f32 s4, s1, 0x3fb8aa3b, s4
	s_cmp_nlt_f32 s1, 0xc2ce8ed0
	s_delay_alu instid0(SALU_CYCLE_1) | instskip(NEXT) | instid1(SALU_CYCLE_1)
	s_sub_f32 s3, s3, s5
	s_fmamk_f32 s4, s1, 0x32a5705f, s4
	s_cselect_b32 vcc_lo, -1, 0
	s_cmp_ngt_f32 s1, 0x42b17218
	s_delay_alu instid0(SALU_CYCLE_1) | instskip(SKIP_1) | instid1(SALU_CYCLE_2)
	s_add_f32 s3, s3, s4
	s_cvt_i32_f32 s4, s5
	v_s_exp_f32 s3, s3
	v_nop
	s_delay_alu instid0(TRANS32_DEP_1) | instid1(SALU_CYCLE_1)
	v_ldexp_f32 v1, s3, s4
	s_delay_alu instid0(VALU_DEP_1)
	v_cndmask_b32_e32 v1, 0, v1, vcc_lo
	s_cselect_b32 vcc_lo, -1, 0
	s_add_co_i32 s2, s2, -1
	s_add_co_i32 s0, s0, 8
	s_cmp_lg_u32 s2, 0
	v_cndmask_b32_e32 v8, 0x7f800000, v1, vcc_lo
	s_wait_loadcnt 0x0
	s_delay_alu instid0(VALU_DEP_1)
	v_pk_fma_f32 v[2:3], v[8:9], v[6:7], v[2:3] op_sel_hi:[0,1,1]
	s_cbranch_scc1 .LBB23_29
.LBB23_30:
	s_delay_alu instid0(VALU_DEP_1) | instskip(NEXT) | instid1(VALU_DEP_1)
	v_div_scale_f32 v1, null, v2, v2, v3
	v_rcp_f32_e32 v4, v1
	v_nop
	s_delay_alu instid0(TRANS32_DEP_1) | instskip(NEXT) | instid1(VALU_DEP_1)
	v_fma_f32 v5, -v1, v4, 1.0
	v_fmac_f32_e32 v4, v5, v4
	v_div_scale_f32 v5, vcc_lo, v3, v2, v3
	s_delay_alu instid0(VALU_DEP_1) | instskip(NEXT) | instid1(VALU_DEP_1)
	v_mul_f32_e32 v6, v5, v4
	v_fma_f32 v7, -v1, v6, v5
	s_delay_alu instid0(VALU_DEP_1) | instskip(NEXT) | instid1(VALU_DEP_1)
	v_fmac_f32_e32 v6, v7, v4
	v_fma_f32 v1, -v1, v6, v5
	s_delay_alu instid0(VALU_DEP_1) | instskip(NEXT) | instid1(VALU_DEP_1)
	v_div_fmas_f32 v1, v1, v4, v6
	v_div_fixup_f32 v1, v1, v2, v3
.LBB23_31:
	s_mul_i32 s0, s11, 0x70
	s_delay_alu instid0(SALU_CYCLE_1) | instskip(NEXT) | instid1(SALU_CYCLE_1)
	s_ashr_i32 s1, s0, 31
	s_lshl_b64 s[0:1], s[0:1], 2
	s_delay_alu instid0(SALU_CYCLE_1)
	s_add_nc_u64 s[0:1], s[8:9], s[0:1]
	global_store_b32 v0, v1, s[0:1] scale_offset
	s_endpgm
	.section	.rodata,"a",@progbits
	.p2align	6, 0x0
	.amdhsa_kernel _ZL26flash_attn_combine_resultsILi112EEvPKfPK15HIP_vector_typeIfLj2EEPfi
		.amdhsa_group_segment_fixed_size 0
		.amdhsa_private_segment_fixed_size 0
		.amdhsa_kernarg_size 288
		.amdhsa_user_sgpr_count 2
		.amdhsa_user_sgpr_dispatch_ptr 0
		.amdhsa_user_sgpr_queue_ptr 0
		.amdhsa_user_sgpr_kernarg_segment_ptr 1
		.amdhsa_user_sgpr_dispatch_id 0
		.amdhsa_user_sgpr_kernarg_preload_length 0
		.amdhsa_user_sgpr_kernarg_preload_offset 0
		.amdhsa_user_sgpr_private_segment_size 0
		.amdhsa_wavefront_size32 1
		.amdhsa_uses_dynamic_stack 0
		.amdhsa_enable_private_segment 0
		.amdhsa_system_sgpr_workgroup_id_x 1
		.amdhsa_system_sgpr_workgroup_id_y 1
		.amdhsa_system_sgpr_workgroup_id_z 1
		.amdhsa_system_sgpr_workgroup_info 0
		.amdhsa_system_vgpr_workitem_id 0
		.amdhsa_next_free_vgpr 36
		.amdhsa_next_free_sgpr 47
		.amdhsa_named_barrier_count 0
		.amdhsa_reserve_vcc 1
		.amdhsa_float_round_mode_32 0
		.amdhsa_float_round_mode_16_64 0
		.amdhsa_float_denorm_mode_32 3
		.amdhsa_float_denorm_mode_16_64 3
		.amdhsa_fp16_overflow 0
		.amdhsa_memory_ordered 1
		.amdhsa_forward_progress 1
		.amdhsa_inst_pref_size 29
		.amdhsa_round_robin_scheduling 0
		.amdhsa_exception_fp_ieee_invalid_op 0
		.amdhsa_exception_fp_denorm_src 0
		.amdhsa_exception_fp_ieee_div_zero 0
		.amdhsa_exception_fp_ieee_overflow 0
		.amdhsa_exception_fp_ieee_underflow 0
		.amdhsa_exception_fp_ieee_inexact 0
		.amdhsa_exception_int_div_zero 0
	.end_amdhsa_kernel
	.section	.text._ZL26flash_attn_combine_resultsILi112EEvPKfPK15HIP_vector_typeIfLj2EEPfi,"axG",@progbits,_ZL26flash_attn_combine_resultsILi112EEvPKfPK15HIP_vector_typeIfLj2EEPfi,comdat
.Lfunc_end23:
	.size	_ZL26flash_attn_combine_resultsILi112EEvPKfPK15HIP_vector_typeIfLj2EEPfi, .Lfunc_end23-_ZL26flash_attn_combine_resultsILi112EEvPKfPK15HIP_vector_typeIfLj2EEPfi
                                        ; -- End function
	.set _ZL26flash_attn_combine_resultsILi112EEvPKfPK15HIP_vector_typeIfLj2EEPfi.num_vgpr, 36
	.set _ZL26flash_attn_combine_resultsILi112EEvPKfPK15HIP_vector_typeIfLj2EEPfi.num_agpr, 0
	.set _ZL26flash_attn_combine_resultsILi112EEvPKfPK15HIP_vector_typeIfLj2EEPfi.numbered_sgpr, 47
	.set _ZL26flash_attn_combine_resultsILi112EEvPKfPK15HIP_vector_typeIfLj2EEPfi.num_named_barrier, 0
	.set _ZL26flash_attn_combine_resultsILi112EEvPKfPK15HIP_vector_typeIfLj2EEPfi.private_seg_size, 0
	.set _ZL26flash_attn_combine_resultsILi112EEvPKfPK15HIP_vector_typeIfLj2EEPfi.uses_vcc, 1
	.set _ZL26flash_attn_combine_resultsILi112EEvPKfPK15HIP_vector_typeIfLj2EEPfi.uses_flat_scratch, 0
	.set _ZL26flash_attn_combine_resultsILi112EEvPKfPK15HIP_vector_typeIfLj2EEPfi.has_dyn_sized_stack, 0
	.set _ZL26flash_attn_combine_resultsILi112EEvPKfPK15HIP_vector_typeIfLj2EEPfi.has_recursion, 0
	.set _ZL26flash_attn_combine_resultsILi112EEvPKfPK15HIP_vector_typeIfLj2EEPfi.has_indirect_call, 0
	.section	.AMDGPU.csdata,"",@progbits
; Kernel info:
; codeLenInByte = 3708
; TotalNumSgprs: 49
; NumVgprs: 36
; ScratchSize: 0
; MemoryBound: 0
; FloatMode: 240
; IeeeMode: 1
; LDSByteSize: 0 bytes/workgroup (compile time only)
; SGPRBlocks: 0
; VGPRBlocks: 2
; NumSGPRsForWavesPerEU: 49
; NumVGPRsForWavesPerEU: 36
; NamedBarCnt: 0
; Occupancy: 16
; WaveLimiterHint : 0
; COMPUTE_PGM_RSRC2:SCRATCH_EN: 0
; COMPUTE_PGM_RSRC2:USER_SGPR: 2
; COMPUTE_PGM_RSRC2:TRAP_HANDLER: 0
; COMPUTE_PGM_RSRC2:TGID_X_EN: 1
; COMPUTE_PGM_RSRC2:TGID_Y_EN: 1
; COMPUTE_PGM_RSRC2:TGID_Z_EN: 1
; COMPUTE_PGM_RSRC2:TIDIG_COMP_CNT: 0
	.section	.text._ZL18flash_attn_ext_f16ILi128ELi128ELi32ELi1ELb0ELb0EEvPKcS1_S1_S1_S1_PKiPfP15HIP_vector_typeIfLj2EEffffjfiS5_IjLj3EEiiiiiiiiiiiliiliiiiil,"axG",@progbits,_ZL18flash_attn_ext_f16ILi128ELi128ELi32ELi1ELb0ELb0EEvPKcS1_S1_S1_S1_PKiPfP15HIP_vector_typeIfLj2EEffffjfiS5_IjLj3EEiiiiiiiiiiiliiliiiiil,comdat
	.globl	_ZL18flash_attn_ext_f16ILi128ELi128ELi32ELi1ELb0ELb0EEvPKcS1_S1_S1_S1_PKiPfP15HIP_vector_typeIfLj2EEffffjfiS5_IjLj3EEiiiiiiiiiiiliiliiiiil ; -- Begin function _ZL18flash_attn_ext_f16ILi128ELi128ELi32ELi1ELb0ELb0EEvPKcS1_S1_S1_S1_PKiPfP15HIP_vector_typeIfLj2EEffffjfiS5_IjLj3EEiiiiiiiiiiiliiliiiiil
	.p2align	8
	.type	_ZL18flash_attn_ext_f16ILi128ELi128ELi32ELi1ELb0ELb0EEvPKcS1_S1_S1_S1_PKiPfP15HIP_vector_typeIfLj2EEffffjfiS5_IjLj3EEiiiiiiiiiiiliiliiiiil,@function
_ZL18flash_attn_ext_f16ILi128ELi128ELi32ELi1ELb0ELb0EEvPKcS1_S1_S1_S1_PKiPfP15HIP_vector_typeIfLj2EEffffjfiS5_IjLj3EEiiiiiiiiiiiliiliiiiil: ; @_ZL18flash_attn_ext_f16ILi128ELi128ELi32ELi1ELb0ELb0EEvPKcS1_S1_S1_S1_PKiPfP15HIP_vector_typeIfLj2EEffffjfiS5_IjLj3EEiiiiiiiiiiiliiliiiiil
; %bb.0:
	v_mov_b32_e32 v0, 0x6e3
	s_add_nc_u64 s[8:9], s[0:1], 0xd0
	s_get_pc_i64 s[0:1]
	s_add_nc_u64 s[0:1], s[0:1], _ZL14no_device_codePKciS0_iS0_@rel64+4
	s_mov_b32 s32, 0
	s_swap_pc_i64 s[30:31], s[0:1]
	.section	.rodata,"a",@progbits
	.p2align	6, 0x0
	.amdhsa_kernel _ZL18flash_attn_ext_f16ILi128ELi128ELi32ELi1ELb0ELb0EEvPKcS1_S1_S1_S1_PKiPfP15HIP_vector_typeIfLj2EEffffjfiS5_IjLj3EEiiiiiiiiiiiliiliiiiil
		.amdhsa_group_segment_fixed_size 0
		.amdhsa_private_segment_fixed_size 16
		.amdhsa_kernarg_size 464
		.amdhsa_user_sgpr_count 2
		.amdhsa_user_sgpr_dispatch_ptr 0
		.amdhsa_user_sgpr_queue_ptr 0
		.amdhsa_user_sgpr_kernarg_segment_ptr 1
		.amdhsa_user_sgpr_dispatch_id 0
		.amdhsa_user_sgpr_kernarg_preload_length 0
		.amdhsa_user_sgpr_kernarg_preload_offset 0
		.amdhsa_user_sgpr_private_segment_size 0
		.amdhsa_wavefront_size32 1
		.amdhsa_uses_dynamic_stack 0
		.amdhsa_enable_private_segment 1
		.amdhsa_system_sgpr_workgroup_id_x 1
		.amdhsa_system_sgpr_workgroup_id_y 0
		.amdhsa_system_sgpr_workgroup_id_z 0
		.amdhsa_system_sgpr_workgroup_info 0
		.amdhsa_system_vgpr_workitem_id 0
		.amdhsa_next_free_vgpr 50
		.amdhsa_next_free_sgpr 34
		.amdhsa_named_barrier_count 0
		.amdhsa_reserve_vcc 1
		.amdhsa_float_round_mode_32 0
		.amdhsa_float_round_mode_16_64 0
		.amdhsa_float_denorm_mode_32 3
		.amdhsa_float_denorm_mode_16_64 3
		.amdhsa_fp16_overflow 0
		.amdhsa_memory_ordered 1
		.amdhsa_forward_progress 1
		.amdhsa_inst_pref_size 1
		.amdhsa_round_robin_scheduling 0
		.amdhsa_exception_fp_ieee_invalid_op 0
		.amdhsa_exception_fp_denorm_src 0
		.amdhsa_exception_fp_ieee_div_zero 0
		.amdhsa_exception_fp_ieee_overflow 0
		.amdhsa_exception_fp_ieee_underflow 0
		.amdhsa_exception_fp_ieee_inexact 0
		.amdhsa_exception_int_div_zero 0
	.end_amdhsa_kernel
	.section	.text._ZL18flash_attn_ext_f16ILi128ELi128ELi32ELi1ELb0ELb0EEvPKcS1_S1_S1_S1_PKiPfP15HIP_vector_typeIfLj2EEffffjfiS5_IjLj3EEiiiiiiiiiiiliiliiiiil,"axG",@progbits,_ZL18flash_attn_ext_f16ILi128ELi128ELi32ELi1ELb0ELb0EEvPKcS1_S1_S1_S1_PKiPfP15HIP_vector_typeIfLj2EEffffjfiS5_IjLj3EEiiiiiiiiiiiliiliiiiil,comdat
.Lfunc_end24:
	.size	_ZL18flash_attn_ext_f16ILi128ELi128ELi32ELi1ELb0ELb0EEvPKcS1_S1_S1_S1_PKiPfP15HIP_vector_typeIfLj2EEffffjfiS5_IjLj3EEiiiiiiiiiiiliiliiiiil, .Lfunc_end24-_ZL18flash_attn_ext_f16ILi128ELi128ELi32ELi1ELb0ELb0EEvPKcS1_S1_S1_S1_PKiPfP15HIP_vector_typeIfLj2EEffffjfiS5_IjLj3EEiiiiiiiiiiiliiliiiiil
                                        ; -- End function
	.set _ZL18flash_attn_ext_f16ILi128ELi128ELi32ELi1ELb0ELb0EEvPKcS1_S1_S1_S1_PKiPfP15HIP_vector_typeIfLj2EEffffjfiS5_IjLj3EEiiiiiiiiiiiliiliiiiil.num_vgpr, max(1, .L_ZL14no_device_codePKciS0_iS0_.num_vgpr)
	.set _ZL18flash_attn_ext_f16ILi128ELi128ELi32ELi1ELb0ELb0EEvPKcS1_S1_S1_S1_PKiPfP15HIP_vector_typeIfLj2EEffffjfiS5_IjLj3EEiiiiiiiiiiiliiliiiiil.num_agpr, max(0, .L_ZL14no_device_codePKciS0_iS0_.num_agpr)
	.set _ZL18flash_attn_ext_f16ILi128ELi128ELi32ELi1ELb0ELb0EEvPKcS1_S1_S1_S1_PKiPfP15HIP_vector_typeIfLj2EEffffjfiS5_IjLj3EEiiiiiiiiiiiliiliiiiil.numbered_sgpr, max(33, .L_ZL14no_device_codePKciS0_iS0_.numbered_sgpr)
	.set _ZL18flash_attn_ext_f16ILi128ELi128ELi32ELi1ELb0ELb0EEvPKcS1_S1_S1_S1_PKiPfP15HIP_vector_typeIfLj2EEffffjfiS5_IjLj3EEiiiiiiiiiiiliiliiiiil.num_named_barrier, max(0, .L_ZL14no_device_codePKciS0_iS0_.num_named_barrier)
	.set _ZL18flash_attn_ext_f16ILi128ELi128ELi32ELi1ELb0ELb0EEvPKcS1_S1_S1_S1_PKiPfP15HIP_vector_typeIfLj2EEffffjfiS5_IjLj3EEiiiiiiiiiiiliiliiiiil.private_seg_size, 0+max(.L_ZL14no_device_codePKciS0_iS0_.private_seg_size)
	.set _ZL18flash_attn_ext_f16ILi128ELi128ELi32ELi1ELb0ELb0EEvPKcS1_S1_S1_S1_PKiPfP15HIP_vector_typeIfLj2EEffffjfiS5_IjLj3EEiiiiiiiiiiiliiliiiiil.uses_vcc, or(1, .L_ZL14no_device_codePKciS0_iS0_.uses_vcc)
	.set _ZL18flash_attn_ext_f16ILi128ELi128ELi32ELi1ELb0ELb0EEvPKcS1_S1_S1_S1_PKiPfP15HIP_vector_typeIfLj2EEffffjfiS5_IjLj3EEiiiiiiiiiiiliiliiiiil.uses_flat_scratch, or(0, .L_ZL14no_device_codePKciS0_iS0_.uses_flat_scratch)
	.set _ZL18flash_attn_ext_f16ILi128ELi128ELi32ELi1ELb0ELb0EEvPKcS1_S1_S1_S1_PKiPfP15HIP_vector_typeIfLj2EEffffjfiS5_IjLj3EEiiiiiiiiiiiliiliiiiil.has_dyn_sized_stack, or(0, .L_ZL14no_device_codePKciS0_iS0_.has_dyn_sized_stack)
	.set _ZL18flash_attn_ext_f16ILi128ELi128ELi32ELi1ELb0ELb0EEvPKcS1_S1_S1_S1_PKiPfP15HIP_vector_typeIfLj2EEffffjfiS5_IjLj3EEiiiiiiiiiiiliiliiiiil.has_recursion, or(0, .L_ZL14no_device_codePKciS0_iS0_.has_recursion)
	.set _ZL18flash_attn_ext_f16ILi128ELi128ELi32ELi1ELb0ELb0EEvPKcS1_S1_S1_S1_PKiPfP15HIP_vector_typeIfLj2EEffffjfiS5_IjLj3EEiiiiiiiiiiiliiliiiiil.has_indirect_call, or(0, .L_ZL14no_device_codePKciS0_iS0_.has_indirect_call)
	.section	.AMDGPU.csdata,"",@progbits
; Kernel info:
; codeLenInByte = 40
; TotalNumSgprs: 36
; NumVgprs: 50
; ScratchSize: 16
; MemoryBound: 0
; FloatMode: 240
; IeeeMode: 1
; LDSByteSize: 0 bytes/workgroup (compile time only)
; SGPRBlocks: 0
; VGPRBlocks: 3
; NumSGPRsForWavesPerEU: 36
; NumVGPRsForWavesPerEU: 50
; NamedBarCnt: 0
; Occupancy: 16
; WaveLimiterHint : 1
; COMPUTE_PGM_RSRC2:SCRATCH_EN: 1
; COMPUTE_PGM_RSRC2:USER_SGPR: 2
; COMPUTE_PGM_RSRC2:TRAP_HANDLER: 0
; COMPUTE_PGM_RSRC2:TGID_X_EN: 1
; COMPUTE_PGM_RSRC2:TGID_Y_EN: 0
; COMPUTE_PGM_RSRC2:TGID_Z_EN: 0
; COMPUTE_PGM_RSRC2:TIDIG_COMP_CNT: 0
	.section	.text._ZL18flash_attn_ext_f16ILi128ELi128ELi32ELi1ELb1ELb0EEvPKcS1_S1_S1_S1_PKiPfP15HIP_vector_typeIfLj2EEffffjfiS5_IjLj3EEiiiiiiiiiiiliiliiiiil,"axG",@progbits,_ZL18flash_attn_ext_f16ILi128ELi128ELi32ELi1ELb1ELb0EEvPKcS1_S1_S1_S1_PKiPfP15HIP_vector_typeIfLj2EEffffjfiS5_IjLj3EEiiiiiiiiiiiliiliiiiil,comdat
	.globl	_ZL18flash_attn_ext_f16ILi128ELi128ELi32ELi1ELb1ELb0EEvPKcS1_S1_S1_S1_PKiPfP15HIP_vector_typeIfLj2EEffffjfiS5_IjLj3EEiiiiiiiiiiiliiliiiiil ; -- Begin function _ZL18flash_attn_ext_f16ILi128ELi128ELi32ELi1ELb1ELb0EEvPKcS1_S1_S1_S1_PKiPfP15HIP_vector_typeIfLj2EEffffjfiS5_IjLj3EEiiiiiiiiiiiliiliiiiil
	.p2align	8
	.type	_ZL18flash_attn_ext_f16ILi128ELi128ELi32ELi1ELb1ELb0EEvPKcS1_S1_S1_S1_PKiPfP15HIP_vector_typeIfLj2EEffffjfiS5_IjLj3EEiiiiiiiiiiiliiliiiiil,@function
_ZL18flash_attn_ext_f16ILi128ELi128ELi32ELi1ELb1ELb0EEvPKcS1_S1_S1_S1_PKiPfP15HIP_vector_typeIfLj2EEffffjfiS5_IjLj3EEiiiiiiiiiiiliiliiiiil: ; @_ZL18flash_attn_ext_f16ILi128ELi128ELi32ELi1ELb1ELb0EEvPKcS1_S1_S1_S1_PKiPfP15HIP_vector_typeIfLj2EEffffjfiS5_IjLj3EEiiiiiiiiiiiliiliiiiil
; %bb.0:
	v_mov_b32_e32 v0, 0x6e3
	s_add_nc_u64 s[8:9], s[0:1], 0xd0
	s_get_pc_i64 s[0:1]
	s_add_nc_u64 s[0:1], s[0:1], _ZL14no_device_codePKciS0_iS0_@rel64+4
	s_mov_b32 s32, 0
	s_swap_pc_i64 s[30:31], s[0:1]
	.section	.rodata,"a",@progbits
	.p2align	6, 0x0
	.amdhsa_kernel _ZL18flash_attn_ext_f16ILi128ELi128ELi32ELi1ELb1ELb0EEvPKcS1_S1_S1_S1_PKiPfP15HIP_vector_typeIfLj2EEffffjfiS5_IjLj3EEiiiiiiiiiiiliiliiiiil
		.amdhsa_group_segment_fixed_size 0
		.amdhsa_private_segment_fixed_size 16
		.amdhsa_kernarg_size 464
		.amdhsa_user_sgpr_count 2
		.amdhsa_user_sgpr_dispatch_ptr 0
		.amdhsa_user_sgpr_queue_ptr 0
		.amdhsa_user_sgpr_kernarg_segment_ptr 1
		.amdhsa_user_sgpr_dispatch_id 0
		.amdhsa_user_sgpr_kernarg_preload_length 0
		.amdhsa_user_sgpr_kernarg_preload_offset 0
		.amdhsa_user_sgpr_private_segment_size 0
		.amdhsa_wavefront_size32 1
		.amdhsa_uses_dynamic_stack 0
		.amdhsa_enable_private_segment 1
		.amdhsa_system_sgpr_workgroup_id_x 1
		.amdhsa_system_sgpr_workgroup_id_y 0
		.amdhsa_system_sgpr_workgroup_id_z 0
		.amdhsa_system_sgpr_workgroup_info 0
		.amdhsa_system_vgpr_workitem_id 0
		.amdhsa_next_free_vgpr 50
		.amdhsa_next_free_sgpr 34
		.amdhsa_named_barrier_count 0
		.amdhsa_reserve_vcc 1
		.amdhsa_float_round_mode_32 0
		.amdhsa_float_round_mode_16_64 0
		.amdhsa_float_denorm_mode_32 3
		.amdhsa_float_denorm_mode_16_64 3
		.amdhsa_fp16_overflow 0
		.amdhsa_memory_ordered 1
		.amdhsa_forward_progress 1
		.amdhsa_inst_pref_size 1
		.amdhsa_round_robin_scheduling 0
		.amdhsa_exception_fp_ieee_invalid_op 0
		.amdhsa_exception_fp_denorm_src 0
		.amdhsa_exception_fp_ieee_div_zero 0
		.amdhsa_exception_fp_ieee_overflow 0
		.amdhsa_exception_fp_ieee_underflow 0
		.amdhsa_exception_fp_ieee_inexact 0
		.amdhsa_exception_int_div_zero 0
	.end_amdhsa_kernel
	.section	.text._ZL18flash_attn_ext_f16ILi128ELi128ELi32ELi1ELb1ELb0EEvPKcS1_S1_S1_S1_PKiPfP15HIP_vector_typeIfLj2EEffffjfiS5_IjLj3EEiiiiiiiiiiiliiliiiiil,"axG",@progbits,_ZL18flash_attn_ext_f16ILi128ELi128ELi32ELi1ELb1ELb0EEvPKcS1_S1_S1_S1_PKiPfP15HIP_vector_typeIfLj2EEffffjfiS5_IjLj3EEiiiiiiiiiiiliiliiiiil,comdat
.Lfunc_end25:
	.size	_ZL18flash_attn_ext_f16ILi128ELi128ELi32ELi1ELb1ELb0EEvPKcS1_S1_S1_S1_PKiPfP15HIP_vector_typeIfLj2EEffffjfiS5_IjLj3EEiiiiiiiiiiiliiliiiiil, .Lfunc_end25-_ZL18flash_attn_ext_f16ILi128ELi128ELi32ELi1ELb1ELb0EEvPKcS1_S1_S1_S1_PKiPfP15HIP_vector_typeIfLj2EEffffjfiS5_IjLj3EEiiiiiiiiiiiliiliiiiil
                                        ; -- End function
	.set _ZL18flash_attn_ext_f16ILi128ELi128ELi32ELi1ELb1ELb0EEvPKcS1_S1_S1_S1_PKiPfP15HIP_vector_typeIfLj2EEffffjfiS5_IjLj3EEiiiiiiiiiiiliiliiiiil.num_vgpr, max(1, .L_ZL14no_device_codePKciS0_iS0_.num_vgpr)
	.set _ZL18flash_attn_ext_f16ILi128ELi128ELi32ELi1ELb1ELb0EEvPKcS1_S1_S1_S1_PKiPfP15HIP_vector_typeIfLj2EEffffjfiS5_IjLj3EEiiiiiiiiiiiliiliiiiil.num_agpr, max(0, .L_ZL14no_device_codePKciS0_iS0_.num_agpr)
	.set _ZL18flash_attn_ext_f16ILi128ELi128ELi32ELi1ELb1ELb0EEvPKcS1_S1_S1_S1_PKiPfP15HIP_vector_typeIfLj2EEffffjfiS5_IjLj3EEiiiiiiiiiiiliiliiiiil.numbered_sgpr, max(33, .L_ZL14no_device_codePKciS0_iS0_.numbered_sgpr)
	.set _ZL18flash_attn_ext_f16ILi128ELi128ELi32ELi1ELb1ELb0EEvPKcS1_S1_S1_S1_PKiPfP15HIP_vector_typeIfLj2EEffffjfiS5_IjLj3EEiiiiiiiiiiiliiliiiiil.num_named_barrier, max(0, .L_ZL14no_device_codePKciS0_iS0_.num_named_barrier)
	.set _ZL18flash_attn_ext_f16ILi128ELi128ELi32ELi1ELb1ELb0EEvPKcS1_S1_S1_S1_PKiPfP15HIP_vector_typeIfLj2EEffffjfiS5_IjLj3EEiiiiiiiiiiiliiliiiiil.private_seg_size, 0+max(.L_ZL14no_device_codePKciS0_iS0_.private_seg_size)
	.set _ZL18flash_attn_ext_f16ILi128ELi128ELi32ELi1ELb1ELb0EEvPKcS1_S1_S1_S1_PKiPfP15HIP_vector_typeIfLj2EEffffjfiS5_IjLj3EEiiiiiiiiiiiliiliiiiil.uses_vcc, or(1, .L_ZL14no_device_codePKciS0_iS0_.uses_vcc)
	.set _ZL18flash_attn_ext_f16ILi128ELi128ELi32ELi1ELb1ELb0EEvPKcS1_S1_S1_S1_PKiPfP15HIP_vector_typeIfLj2EEffffjfiS5_IjLj3EEiiiiiiiiiiiliiliiiiil.uses_flat_scratch, or(0, .L_ZL14no_device_codePKciS0_iS0_.uses_flat_scratch)
	.set _ZL18flash_attn_ext_f16ILi128ELi128ELi32ELi1ELb1ELb0EEvPKcS1_S1_S1_S1_PKiPfP15HIP_vector_typeIfLj2EEffffjfiS5_IjLj3EEiiiiiiiiiiiliiliiiiil.has_dyn_sized_stack, or(0, .L_ZL14no_device_codePKciS0_iS0_.has_dyn_sized_stack)
	.set _ZL18flash_attn_ext_f16ILi128ELi128ELi32ELi1ELb1ELb0EEvPKcS1_S1_S1_S1_PKiPfP15HIP_vector_typeIfLj2EEffffjfiS5_IjLj3EEiiiiiiiiiiiliiliiiiil.has_recursion, or(0, .L_ZL14no_device_codePKciS0_iS0_.has_recursion)
	.set _ZL18flash_attn_ext_f16ILi128ELi128ELi32ELi1ELb1ELb0EEvPKcS1_S1_S1_S1_PKiPfP15HIP_vector_typeIfLj2EEffffjfiS5_IjLj3EEiiiiiiiiiiiliiliiiiil.has_indirect_call, or(0, .L_ZL14no_device_codePKciS0_iS0_.has_indirect_call)
	.section	.AMDGPU.csdata,"",@progbits
; Kernel info:
; codeLenInByte = 40
; TotalNumSgprs: 36
; NumVgprs: 50
; ScratchSize: 16
; MemoryBound: 0
; FloatMode: 240
; IeeeMode: 1
; LDSByteSize: 0 bytes/workgroup (compile time only)
; SGPRBlocks: 0
; VGPRBlocks: 3
; NumSGPRsForWavesPerEU: 36
; NumVGPRsForWavesPerEU: 50
; NamedBarCnt: 0
; Occupancy: 16
; WaveLimiterHint : 1
; COMPUTE_PGM_RSRC2:SCRATCH_EN: 1
; COMPUTE_PGM_RSRC2:USER_SGPR: 2
; COMPUTE_PGM_RSRC2:TRAP_HANDLER: 0
; COMPUTE_PGM_RSRC2:TGID_X_EN: 1
; COMPUTE_PGM_RSRC2:TGID_Y_EN: 0
; COMPUTE_PGM_RSRC2:TGID_Z_EN: 0
; COMPUTE_PGM_RSRC2:TIDIG_COMP_CNT: 0
	.section	.text._ZL33flash_attn_stream_k_fixup_uniformILi128ELi32ELi1EEvPfPK15HIP_vector_typeIfLj2EEiiiiiiS1_IjLj3EES5_S5_,"axG",@progbits,_ZL33flash_attn_stream_k_fixup_uniformILi128ELi32ELi1EEvPfPK15HIP_vector_typeIfLj2EEiiiiiiS1_IjLj3EES5_S5_,comdat
	.globl	_ZL33flash_attn_stream_k_fixup_uniformILi128ELi32ELi1EEvPfPK15HIP_vector_typeIfLj2EEiiiiiiS1_IjLj3EES5_S5_ ; -- Begin function _ZL33flash_attn_stream_k_fixup_uniformILi128ELi32ELi1EEvPfPK15HIP_vector_typeIfLj2EEiiiiiiS1_IjLj3EES5_S5_
	.p2align	8
	.type	_ZL33flash_attn_stream_k_fixup_uniformILi128ELi32ELi1EEvPfPK15HIP_vector_typeIfLj2EEiiiiiiS1_IjLj3EES5_S5_,@function
_ZL33flash_attn_stream_k_fixup_uniformILi128ELi32ELi1EEvPfPK15HIP_vector_typeIfLj2EEiiiiiiS1_IjLj3EES5_S5_: ; @_ZL33flash_attn_stream_k_fixup_uniformILi128ELi32ELi1EEvPfPK15HIP_vector_typeIfLj2EEiiiiiiS1_IjLj3EES5_S5_
; %bb.0:
	s_load_b256 s[4:11], s[0:1], 0x1c
	s_bfe_u32 s2, ttmp6, 0x40014
	s_lshr_b32 s3, ttmp7, 16
	s_add_co_i32 s2, s2, 1
	s_bfe_u32 s13, ttmp6, 0x40010
	s_mul_i32 s2, s3, s2
	s_bfe_u32 s12, ttmp6, 0x40008
	s_and_b32 s14, ttmp7, 0xffff
	s_add_co_i32 s13, s13, 1
	s_bfe_u32 s15, ttmp6, 0x4000c
	s_add_co_i32 s2, s12, s2
	s_mul_i32 s12, s14, s13
	s_bfe_u32 s13, ttmp6, 0x40004
	s_add_co_i32 s15, s15, 1
	s_add_co_i32 s13, s13, s12
	s_and_b32 s12, ttmp6, 15
	s_mul_i32 s15, ttmp9, s15
	s_getreg_b32 s20, hwreg(HW_REG_IB_STS2, 6, 4)
	s_add_co_i32 s12, s12, s15
	s_load_b128 s[16:19], s[0:1], 0x3c
	s_cmp_eq_u32 s20, 0
	s_cselect_b32 s12, ttmp9, s12
	s_cselect_b32 s13, s14, s13
	s_wait_kmcnt 0x0
	s_mul_hi_u32 s7, s7, s12
	s_cselect_b32 s14, s3, s2
	s_add_co_i32 s2, s12, s7
	s_delay_alu instid0(SALU_CYCLE_1) | instskip(NEXT) | instid1(SALU_CYCLE_1)
	s_lshr_b32 s7, s2, s8
	s_mul_i32 s2, s7, s9
	s_delay_alu instid0(SALU_CYCLE_1) | instskip(NEXT) | instid1(SALU_CYCLE_1)
	s_sub_co_i32 s8, s12, s2
	s_mul_hi_u32 s2, s8, s10
	s_delay_alu instid0(SALU_CYCLE_1) | instskip(SKIP_2) | instid1(SALU_CYCLE_1)
	s_add_co_i32 s9, s8, s2
	s_load_b64 s[2:3], s[0:1], 0x10
	s_lshr_b32 s15, s9, s11
	s_mul_i32 s9, s15, s16
	s_delay_alu instid0(SALU_CYCLE_1) | instskip(NEXT) | instid1(SALU_CYCLE_1)
	s_sub_co_i32 s8, s8, s9
	s_mul_hi_u32 s9, s8, s17
	s_delay_alu instid0(SALU_CYCLE_1) | instskip(NEXT) | instid1(SALU_CYCLE_1)
	s_add_co_i32 s9, s8, s9
	s_lshr_b32 s16, s9, s18
	s_delay_alu instid0(SALU_CYCLE_1) | instskip(NEXT) | instid1(SALU_CYCLE_1)
	s_mul_i32 s9, s16, s19
	s_sub_co_i32 s17, s8, s9
	s_delay_alu instid0(SALU_CYCLE_1) | instskip(NEXT) | instid1(SALU_CYCLE_1)
	s_lshl_b32 s8, s17, 5
	s_add_co_i32 s8, s8, s13
	s_wait_kmcnt 0x0
	s_cmp_lt_i32 s8, s2
	s_cselect_b32 s8, -1, 0
	s_add_co_i32 s9, s16, s14
	s_delay_alu instid0(SALU_CYCLE_1) | instskip(SKIP_1) | instid1(SALU_CYCLE_1)
	s_cmp_lt_i32 s9, s5
	s_cselect_b32 s9, -1, 0
	s_and_b32 s8, s8, s9
	s_delay_alu instid0(SALU_CYCLE_1)
	s_and_not1_b32 vcc_lo, exec_lo, s8
	s_cbranch_vccnz .LBB26_6
; %bb.1:
	s_mul_i32 s2, s7, s2
	s_load_b128 s[8:11], s[0:1], 0x0
	s_wait_xcnt 0x0
	s_add_co_i32 s0, s2, s13
	s_mul_i32 s15, s15, s5
	s_mul_i32 s0, s0, s3
	;; [unrolled: 1-line block ×3, first 2 shown]
	s_add_co_i32 s0, s0, s14
	s_lshl_b32 s1, s1, 12
	s_add_co_i32 s0, s0, s15
	s_mul_i32 s7, s6, s12
	s_add_co_i32 s0, s0, s16
	s_add_co_i32 s5, s7, s6
	s_lshl_b32 s0, s0, 7
	s_add_co_i32 s13, s13, s14
	s_add_co_i32 s1, s1, s0
	s_lshl_b32 s0, s5, 5
	v_or_b32_e32 v4, s1, v0
	s_add_co_i32 s0, s13, s0
	s_add_co_i32 s2, s5, -2
	s_sub_co_i32 s0, s0, 32
	s_delay_alu instid0(SALU_CYCLE_1)
	s_ashr_i32 s1, s0, 31
	s_wait_kmcnt 0x0
	global_load_b32 v3, v4, s[8:9] scale_offset
	s_lshl_b64 s[0:1], s[0:1], 3
	v_ashrrev_i32_e32 v5, 31, v4
	s_add_nc_u64 s[0:1], s[10:11], s[0:1]
	s_cmp_lt_i32 s2, s7
	s_load_b32 s14, s[0:1], 0x4
	s_cbranch_scc1 .LBB26_4
; %bb.2:
	s_wait_xcnt 0x0
	s_load_b32 s0, s[0:1], 0x0
	s_add_co_i32 s12, s12, 1
	s_lshl_b32 s3, s13, 7
	s_wait_xcnt 0x0
	s_mul_i32 s1, s6, s12
	s_lshl_b32 s2, s4, 7
	s_lshl_b32 s6, s1, 12
	;; [unrolled: 1-line block ×3, first 2 shown]
	s_add_co_i32 s6, s3, s6
	s_ashr_i32 s3, s2, 31
	s_wait_kmcnt 0x0
	v_dual_mov_b32 v2, s14 :: v_dual_bitop2_b32 v0, s6, v0 bitop3:0x54
	s_add_co_i32 s1, s13, s1
	s_lshl_b32 s4, s4, 5
	s_lshl_b64 s[2:3], s[2:3], 2
	s_delay_alu instid0(VALU_DEP_1)
	v_add_nc_u32_e32 v0, 0xffffe000, v0
	s_add_co_i32 s4, s1, s4
	s_add_nc_u64 s[2:3], s[10:11], s[2:3]
	s_add_co_i32 s1, s5, -1
	s_sub_co_i32 s4, s4, 64
.LBB26_3:                               ; =>This Inner Loop Header: Depth=1
	global_load_b32 v7, v0, s[2:3] scale_offset
	s_ashr_i32 s5, s4, 31
	v_max_num_f32_e64 v1, s0, s0
	s_lshl_b64 s[12:13], s[4:5], 3
	s_delay_alu instid0(SALU_CYCLE_1) | instskip(SKIP_1) | instid1(VALU_DEP_1)
	s_add_nc_u64 s[12:13], s[10:11], s[12:13]
	s_load_b64 s[12:13], s[12:13], 0x0
	v_readfirstlane_b32 s5, v1
	v_add_nc_u32_e32 v0, 0xfffff000, v0
	s_wait_kmcnt 0x0
	v_max_num_f32_e64 v1, s12, s12
	s_delay_alu instid0(VALU_DEP_1) | instskip(SKIP_1) | instid1(SALU_CYCLE_3)
	v_readfirstlane_b32 s6, v1
	s_max_num_f32 s5, s5, s6
	s_sub_f32 s0, s0, s5
	s_sub_f32 s6, s12, s5
	s_delay_alu instid0(SALU_CYCLE_2) | instskip(NEXT) | instid1(SALU_CYCLE_2)
	s_mul_f32 s12, s0, 0x3fb8aa3b
	s_mul_f32 s14, s6, 0x3fb8aa3b
	s_delay_alu instid0(SALU_CYCLE_2)
	s_xor_b32 s15, s12, 0x80000000
	s_rndne_f32 s16, s12
	s_fmamk_f32 s15, s0, 0x3fb8aa3b, s15
	s_cmp_nlt_f32 s0, 0xc2ce8ed0
	s_rndne_f32 s17, s14
	s_sub_f32 s12, s12, s16
	s_fmamk_f32 s15, s0, 0x32a5705f, s15
	s_cselect_b32 vcc_lo, -1, 0
	s_cmp_ngt_f32 s0, 0x42b17218
	s_delay_alu instid0(SALU_CYCLE_1) | instskip(SKIP_2) | instid1(SALU_CYCLE_1)
	s_add_f32 s12, s12, s15
	s_cvt_i32_f32 s15, s16
	s_sub_f32 s16, s14, s17
	v_s_exp_f32 s12, s12
	v_nop
	s_delay_alu instid0(TRANS32_DEP_1) | instskip(SKIP_1) | instid1(VALU_DEP_1)
	v_ldexp_f32 v1, s12, s15
	s_cvt_i32_f32 s12, s17
	v_cndmask_b32_e32 v1, 0, v1, vcc_lo
	s_cselect_b32 vcc_lo, -1, 0
	s_cmp_ge_f32 s0, 0xc1a00000
	s_delay_alu instid0(VALU_DEP_1)
	v_cndmask_b32_e32 v1, 0x7f800000, v1, vcc_lo
	s_cselect_b32 vcc_lo, -1, 0
	s_xor_b32 s0, s14, 0x80000000
	s_cmp_nlt_f32 s6, 0xc2ce8ed0
	s_fmamk_f32 s0, s6, 0x3fb8aa3b, s0
	v_cndmask_b32_e32 v10, 0, v1, vcc_lo
	s_delay_alu instid0(SALU_CYCLE_2) | instskip(NEXT) | instid1(SALU_CYCLE_3)
	s_fmamk_f32 s0, s6, 0x32a5705f, s0
	s_add_f32 s0, s16, s0
	s_delay_alu instid0(SALU_CYCLE_3) | instskip(SKIP_1) | instid1(TRANS32_DEP_1)
	v_s_exp_f32 s0, s0
	v_nop
	v_ldexp_f32 v6, s0, s12
	s_cselect_b32 s0, -1, 0
	s_cmp_ngt_f32 s6, 0x42b17218
	s_delay_alu instid0(VALU_DEP_1) | instskip(SKIP_2) | instid1(VALU_DEP_1)
	v_cndmask_b32_e64 v6, 0, v6, s0
	s_cselect_b32 s0, -1, 0
	s_cmp_ge_f32 s6, 0xc1a00000
	v_cndmask_b32_e64 v8, 0x7f800000, v6, s0
	s_cselect_b32 s0, -1, 0
	v_mov_b32_e32 v6, s13
	s_add_co_i32 s1, s1, -1
	s_sub_co_i32 s4, s4, 32
	v_cndmask_b32_e64 v8, 0, v8, s0
	s_cmp_le_i32 s1, s7
	s_mov_b32 s0, s5
	s_wait_loadcnt 0x0
	s_delay_alu instid0(VALU_DEP_1) | instskip(NEXT) | instid1(VALU_DEP_1)
	v_pk_mul_f32 v[6:7], v[6:7], v[8:9] op_sel_hi:[1,0]
	v_pk_fma_f32 v[2:3], v[2:3], v[10:11], v[6:7] op_sel_hi:[1,0,1]
	s_cbranch_scc0 .LBB26_3
	s_branch .LBB26_5
.LBB26_4:
	s_wait_kmcnt 0x0
	v_mov_b32_e32 v2, s14
.LBB26_5:
	v_lshl_add_u64 v[0:1], v[4:5], 2, s[8:9]
	s_wait_loadcnt 0x0
	s_delay_alu instid0(VALU_DEP_2) | instskip(NEXT) | instid1(VALU_DEP_1)
	v_div_scale_f32 v4, null, v2, v2, v3
	v_rcp_f32_e32 v5, v4
	v_nop
	s_delay_alu instid0(TRANS32_DEP_1) | instskip(NEXT) | instid1(VALU_DEP_1)
	v_fma_f32 v6, -v4, v5, 1.0
	v_fmac_f32_e32 v5, v6, v5
	v_div_scale_f32 v6, vcc_lo, v3, v2, v3
	s_delay_alu instid0(VALU_DEP_1) | instskip(NEXT) | instid1(VALU_DEP_1)
	v_mul_f32_e32 v7, v6, v5
	v_fma_f32 v8, -v4, v7, v6
	s_delay_alu instid0(VALU_DEP_1) | instskip(NEXT) | instid1(VALU_DEP_1)
	v_fmac_f32_e32 v7, v8, v5
	v_fma_f32 v4, -v4, v7, v6
	s_delay_alu instid0(VALU_DEP_1) | instskip(NEXT) | instid1(VALU_DEP_1)
	v_div_fmas_f32 v4, v4, v5, v7
	v_div_fixup_f32 v2, v4, v2, v3
	global_store_b32 v[0:1], v2, off
.LBB26_6:
	s_endpgm
	.section	.rodata,"a",@progbits
	.p2align	6, 0x0
	.amdhsa_kernel _ZL33flash_attn_stream_k_fixup_uniformILi128ELi32ELi1EEvPfPK15HIP_vector_typeIfLj2EEiiiiiiS1_IjLj3EES5_S5_
		.amdhsa_group_segment_fixed_size 0
		.amdhsa_private_segment_fixed_size 0
		.amdhsa_kernarg_size 76
		.amdhsa_user_sgpr_count 2
		.amdhsa_user_sgpr_dispatch_ptr 0
		.amdhsa_user_sgpr_queue_ptr 0
		.amdhsa_user_sgpr_kernarg_segment_ptr 1
		.amdhsa_user_sgpr_dispatch_id 0
		.amdhsa_user_sgpr_kernarg_preload_length 0
		.amdhsa_user_sgpr_kernarg_preload_offset 0
		.amdhsa_user_sgpr_private_segment_size 0
		.amdhsa_wavefront_size32 1
		.amdhsa_uses_dynamic_stack 0
		.amdhsa_enable_private_segment 0
		.amdhsa_system_sgpr_workgroup_id_x 1
		.amdhsa_system_sgpr_workgroup_id_y 1
		.amdhsa_system_sgpr_workgroup_id_z 1
		.amdhsa_system_sgpr_workgroup_info 0
		.amdhsa_system_vgpr_workitem_id 0
		.amdhsa_next_free_vgpr 12
		.amdhsa_next_free_sgpr 21
		.amdhsa_named_barrier_count 0
		.amdhsa_reserve_vcc 1
		.amdhsa_float_round_mode_32 0
		.amdhsa_float_round_mode_16_64 0
		.amdhsa_float_denorm_mode_32 3
		.amdhsa_float_denorm_mode_16_64 3
		.amdhsa_fp16_overflow 0
		.amdhsa_memory_ordered 1
		.amdhsa_forward_progress 1
		.amdhsa_inst_pref_size 9
		.amdhsa_round_robin_scheduling 0
		.amdhsa_exception_fp_ieee_invalid_op 0
		.amdhsa_exception_fp_denorm_src 0
		.amdhsa_exception_fp_ieee_div_zero 0
		.amdhsa_exception_fp_ieee_overflow 0
		.amdhsa_exception_fp_ieee_underflow 0
		.amdhsa_exception_fp_ieee_inexact 0
		.amdhsa_exception_int_div_zero 0
	.end_amdhsa_kernel
	.section	.text._ZL33flash_attn_stream_k_fixup_uniformILi128ELi32ELi1EEvPfPK15HIP_vector_typeIfLj2EEiiiiiiS1_IjLj3EES5_S5_,"axG",@progbits,_ZL33flash_attn_stream_k_fixup_uniformILi128ELi32ELi1EEvPfPK15HIP_vector_typeIfLj2EEiiiiiiS1_IjLj3EES5_S5_,comdat
.Lfunc_end26:
	.size	_ZL33flash_attn_stream_k_fixup_uniformILi128ELi32ELi1EEvPfPK15HIP_vector_typeIfLj2EEiiiiiiS1_IjLj3EES5_S5_, .Lfunc_end26-_ZL33flash_attn_stream_k_fixup_uniformILi128ELi32ELi1EEvPfPK15HIP_vector_typeIfLj2EEiiiiiiS1_IjLj3EES5_S5_
                                        ; -- End function
	.set _ZL33flash_attn_stream_k_fixup_uniformILi128ELi32ELi1EEvPfPK15HIP_vector_typeIfLj2EEiiiiiiS1_IjLj3EES5_S5_.num_vgpr, 12
	.set _ZL33flash_attn_stream_k_fixup_uniformILi128ELi32ELi1EEvPfPK15HIP_vector_typeIfLj2EEiiiiiiS1_IjLj3EES5_S5_.num_agpr, 0
	.set _ZL33flash_attn_stream_k_fixup_uniformILi128ELi32ELi1EEvPfPK15HIP_vector_typeIfLj2EEiiiiiiS1_IjLj3EES5_S5_.numbered_sgpr, 21
	.set _ZL33flash_attn_stream_k_fixup_uniformILi128ELi32ELi1EEvPfPK15HIP_vector_typeIfLj2EEiiiiiiS1_IjLj3EES5_S5_.num_named_barrier, 0
	.set _ZL33flash_attn_stream_k_fixup_uniformILi128ELi32ELi1EEvPfPK15HIP_vector_typeIfLj2EEiiiiiiS1_IjLj3EES5_S5_.private_seg_size, 0
	.set _ZL33flash_attn_stream_k_fixup_uniformILi128ELi32ELi1EEvPfPK15HIP_vector_typeIfLj2EEiiiiiiS1_IjLj3EES5_S5_.uses_vcc, 1
	.set _ZL33flash_attn_stream_k_fixup_uniformILi128ELi32ELi1EEvPfPK15HIP_vector_typeIfLj2EEiiiiiiS1_IjLj3EES5_S5_.uses_flat_scratch, 0
	.set _ZL33flash_attn_stream_k_fixup_uniformILi128ELi32ELi1EEvPfPK15HIP_vector_typeIfLj2EEiiiiiiS1_IjLj3EES5_S5_.has_dyn_sized_stack, 0
	.set _ZL33flash_attn_stream_k_fixup_uniformILi128ELi32ELi1EEvPfPK15HIP_vector_typeIfLj2EEiiiiiiS1_IjLj3EES5_S5_.has_recursion, 0
	.set _ZL33flash_attn_stream_k_fixup_uniformILi128ELi32ELi1EEvPfPK15HIP_vector_typeIfLj2EEiiiiiiS1_IjLj3EES5_S5_.has_indirect_call, 0
	.section	.AMDGPU.csdata,"",@progbits
; Kernel info:
; codeLenInByte = 1080
; TotalNumSgprs: 23
; NumVgprs: 12
; ScratchSize: 0
; MemoryBound: 0
; FloatMode: 240
; IeeeMode: 1
; LDSByteSize: 0 bytes/workgroup (compile time only)
; SGPRBlocks: 0
; VGPRBlocks: 0
; NumSGPRsForWavesPerEU: 23
; NumVGPRsForWavesPerEU: 12
; NamedBarCnt: 0
; Occupancy: 16
; WaveLimiterHint : 0
; COMPUTE_PGM_RSRC2:SCRATCH_EN: 0
; COMPUTE_PGM_RSRC2:USER_SGPR: 2
; COMPUTE_PGM_RSRC2:TRAP_HANDLER: 0
; COMPUTE_PGM_RSRC2:TGID_X_EN: 1
; COMPUTE_PGM_RSRC2:TGID_Y_EN: 1
; COMPUTE_PGM_RSRC2:TGID_Z_EN: 1
; COMPUTE_PGM_RSRC2:TIDIG_COMP_CNT: 0
	.section	.text._ZL33flash_attn_stream_k_fixup_generalILi128ELi32ELi1EEvPfPK15HIP_vector_typeIfLj2EEiiiiS1_IjLj3EES5_S5_S5_,"axG",@progbits,_ZL33flash_attn_stream_k_fixup_generalILi128ELi32ELi1EEvPfPK15HIP_vector_typeIfLj2EEiiiiS1_IjLj3EES5_S5_S5_,comdat
	.globl	_ZL33flash_attn_stream_k_fixup_generalILi128ELi32ELi1EEvPfPK15HIP_vector_typeIfLj2EEiiiiS1_IjLj3EES5_S5_S5_ ; -- Begin function _ZL33flash_attn_stream_k_fixup_generalILi128ELi32ELi1EEvPfPK15HIP_vector_typeIfLj2EEiiiiS1_IjLj3EES5_S5_S5_
	.p2align	8
	.type	_ZL33flash_attn_stream_k_fixup_generalILi128ELi32ELi1EEvPfPK15HIP_vector_typeIfLj2EEiiiiS1_IjLj3EES5_S5_S5_,@function
_ZL33flash_attn_stream_k_fixup_generalILi128ELi32ELi1EEvPfPK15HIP_vector_typeIfLj2EEiiiiS1_IjLj3EES5_S5_S5_: ; @_ZL33flash_attn_stream_k_fixup_generalILi128ELi32ELi1EEvPfPK15HIP_vector_typeIfLj2EEiiiiS1_IjLj3EES5_S5_S5_
; %bb.0:
	s_clause 0x1
	s_load_b128 s[4:7], s[0:1], 0x10
	s_load_b32 s16, s[0:1], 0x50
	s_bfe_u32 s2, ttmp6, 0x4000c
	s_and_b32 s3, ttmp6, 15
	s_add_co_i32 s2, s2, 1
	s_getreg_b32 s15, hwreg(HW_REG_IB_STS2, 6, 4)
	s_mul_i32 s2, ttmp9, s2
	s_mov_b32 s17, 0
	s_add_co_i32 s3, s3, s2
	s_cmp_eq_u32 s15, 0
	s_cselect_b32 s2, ttmp9, s3
	s_delay_alu instid0(SALU_CYCLE_1) | instskip(SKIP_3) | instid1(SALU_CYCLE_1)
	s_ashr_i32 s3, s2, 31
	s_wait_kmcnt 0x0
	s_ashr_i32 s19, s7, 31
	s_mov_b32 s18, s7
	s_mul_u64 s[8:9], s[18:19], s[2:3]
	s_delay_alu instid0(SALU_CYCLE_1) | instskip(NEXT) | instid1(SALU_CYCLE_1)
	s_and_b64 s[10:11], s[8:9], 0xffffffff00000000
	s_cmp_lg_u64 s[10:11], 0
	s_cbranch_scc0 .LBB27_21
; %bb.1:
	s_add_nc_u64 s[10:11], s[16:17], 0
	s_mov_b32 s23, s17
	s_xor_b64 s[10:11], s[10:11], 0
	s_mov_b32 s27, s17
	s_cvt_f32_u32 s3, s10
	s_cvt_f32_u32 s7, s11
	s_sub_nc_u64 s[20:21], 0, s[10:11]
	s_delay_alu instid0(SALU_CYCLE_2) | instskip(NEXT) | instid1(SALU_CYCLE_3)
	s_fmamk_f32 s3, s7, 0x4f800000, s3
	v_s_rcp_f32 s3, s3
	s_delay_alu instid0(TRANS32_DEP_1) | instskip(NEXT) | instid1(SALU_CYCLE_3)
	s_mul_f32 s3, s3, 0x5f7ffffc
	s_mul_f32 s7, s3, 0x2f800000
	s_delay_alu instid0(SALU_CYCLE_3) | instskip(NEXT) | instid1(SALU_CYCLE_3)
	s_trunc_f32 s7, s7
	s_fmamk_f32 s3, s7, 0xcf800000, s3
	s_cvt_u32_f32 s13, s7
	s_delay_alu instid0(SALU_CYCLE_2) | instskip(NEXT) | instid1(SALU_CYCLE_3)
	s_cvt_u32_f32 s12, s3
	s_mul_u64 s[24:25], s[20:21], s[12:13]
	s_delay_alu instid0(SALU_CYCLE_1)
	s_mul_hi_u32 s29, s12, s25
	s_mul_i32 s28, s12, s25
	s_mul_hi_u32 s22, s12, s24
	s_mul_i32 s7, s13, s24
	s_add_nc_u64 s[22:23], s[22:23], s[28:29]
	s_mul_hi_u32 s3, s13, s24
	s_mul_hi_u32 s14, s13, s25
	s_add_co_u32 s7, s22, s7
	s_add_co_ci_u32 s26, s23, s3
	s_mul_i32 s24, s13, s25
	s_add_co_ci_u32 s25, s14, 0
	s_delay_alu instid0(SALU_CYCLE_1) | instskip(SKIP_3) | instid1(SALU_CYCLE_1)
	s_add_nc_u64 s[22:23], s[26:27], s[24:25]
	s_mov_b32 s25, s17
	s_add_co_u32 s12, s12, s22
	s_cselect_b32 s3, -1, 0
	s_cmp_lg_u32 s3, 0
	s_add_co_ci_u32 s13, s13, s23
	s_mov_b32 s23, s17
	s_mul_u64 s[20:21], s[20:21], s[12:13]
	s_delay_alu instid0(SALU_CYCLE_1)
	s_mul_hi_u32 s27, s12, s21
	s_mul_i32 s26, s12, s21
	s_mul_hi_u32 s22, s12, s20
	s_mul_i32 s7, s13, s20
	s_add_nc_u64 s[22:23], s[22:23], s[26:27]
	s_mul_hi_u32 s3, s13, s20
	s_mul_hi_u32 s14, s13, s21
	s_add_co_u32 s7, s22, s7
	s_add_co_ci_u32 s24, s23, s3
	s_mul_i32 s20, s13, s21
	s_add_co_ci_u32 s21, s14, 0
	s_mov_b32 s23, s17
	s_add_nc_u64 s[20:21], s[24:25], s[20:21]
	s_delay_alu instid0(SALU_CYCLE_1) | instskip(SKIP_1) | instid1(SALU_CYCLE_1)
	s_add_co_u32 s3, s12, s20
	s_cselect_b32 s7, -1, 0
	s_cmp_lg_u32 s7, 0
	s_add_co_ci_u32 s7, s13, s21
	s_ashr_i32 s12, s9, 31
	s_delay_alu instid0(SALU_CYCLE_1) | instskip(NEXT) | instid1(SALU_CYCLE_1)
	s_mov_b32 s13, s12
	s_add_nc_u64 s[20:21], s[8:9], s[12:13]
	s_delay_alu instid0(SALU_CYCLE_1) | instskip(NEXT) | instid1(SALU_CYCLE_1)
	s_xor_b64 s[20:21], s[20:21], s[12:13]
	s_mul_hi_u32 s27, s20, s7
	s_mul_i32 s26, s20, s7
	s_mul_hi_u32 s22, s20, s3
	s_mul_hi_u32 s14, s21, s3
	s_mul_i32 s3, s21, s3
	s_add_nc_u64 s[22:23], s[22:23], s[26:27]
	s_mul_hi_u32 s9, s21, s7
	s_add_co_u32 s3, s22, s3
	s_add_co_ci_u32 s24, s23, s14
	s_mul_i32 s26, s21, s7
	s_add_co_ci_u32 s27, s9, 0
	s_delay_alu instid0(SALU_CYCLE_1) | instskip(NEXT) | instid1(SALU_CYCLE_1)
	s_add_nc_u64 s[22:23], s[24:25], s[26:27]
	s_and_b64 s[24:25], s[22:23], 0xffffffff00000000
	s_delay_alu instid0(SALU_CYCLE_1) | instskip(NEXT) | instid1(SALU_CYCLE_1)
	s_or_b32 s24, s24, s22
	s_mul_u64 s[22:23], s[10:11], s[24:25]
	s_add_nc_u64 s[26:27], s[24:25], 1
	s_sub_co_u32 s3, s20, s22
	s_cselect_b32 s7, -1, 0
	s_sub_co_i32 s9, s21, s23
	s_cmp_lg_u32 s7, 0
	s_add_nc_u64 s[28:29], s[24:25], 2
	s_sub_co_ci_u32 s9, s9, s11
	s_sub_co_u32 s14, s3, s10
	s_cselect_b32 s20, -1, 0
	s_delay_alu instid0(SALU_CYCLE_1) | instskip(SKIP_1) | instid1(SALU_CYCLE_1)
	s_cmp_lg_u32 s20, 0
	s_sub_co_ci_u32 s9, s9, 0
	s_cmp_ge_u32 s9, s11
	s_cselect_b32 s20, -1, 0
	s_cmp_ge_u32 s14, s10
	s_cselect_b32 s14, -1, 0
	s_cmp_eq_u32 s9, s11
	s_cselect_b32 s9, s14, s20
	s_delay_alu instid0(SALU_CYCLE_1) | instskip(SKIP_4) | instid1(SALU_CYCLE_1)
	s_cmp_lg_u32 s9, 0
	s_cselect_b32 s9, s28, s26
	s_cselect_b32 s14, s29, s27
	s_cmp_lg_u32 s7, 0
	s_sub_co_ci_u32 s7, s21, s23
	s_cmp_ge_u32 s7, s11
	s_cselect_b32 s20, -1, 0
	s_cmp_ge_u32 s3, s10
	s_cselect_b32 s3, -1, 0
	s_cmp_eq_u32 s7, s11
	s_cselect_b32 s3, s3, s20
	s_delay_alu instid0(SALU_CYCLE_1) | instskip(SKIP_4) | instid1(SALU_CYCLE_1)
	s_cmp_lg_u32 s3, 0
	s_mov_b32 s3, s17
	s_cselect_b32 s11, s14, s25
	s_cselect_b32 s10, s9, s24
	s_xor_b64 s[12:13], s[12:13], 0
	s_xor_b64 s[10:11], s[10:11], s[12:13]
	s_delay_alu instid0(SALU_CYCLE_1)
	s_sub_nc_u64 s[20:21], s[10:11], s[12:13]
	s_and_not1_b32 vcc_lo, exec_lo, s3
	s_cbranch_vccnz .LBB27_3
.LBB27_2:
	v_cvt_f32_u32_e32 v1, s16
	s_sub_co_i32 s7, 0, s16
	s_mov_b32 s21, 0
	s_delay_alu instid0(VALU_DEP_1) | instskip(SKIP_1) | instid1(TRANS32_DEP_1)
	v_rcp_iflag_f32_e32 v1, v1
	v_nop
	v_mul_f32_e32 v1, 0x4f7ffffe, v1
	s_delay_alu instid0(VALU_DEP_1) | instskip(NEXT) | instid1(VALU_DEP_1)
	v_cvt_u32_f32_e32 v1, v1
	v_readfirstlane_b32 s3, v1
	s_mul_i32 s7, s7, s3
	s_delay_alu instid0(SALU_CYCLE_1) | instskip(NEXT) | instid1(SALU_CYCLE_1)
	s_mul_hi_u32 s7, s3, s7
	s_add_co_i32 s3, s3, s7
	s_delay_alu instid0(SALU_CYCLE_1) | instskip(NEXT) | instid1(SALU_CYCLE_1)
	s_mul_hi_u32 s3, s8, s3
	s_mul_i32 s7, s3, s16
	s_delay_alu instid0(SALU_CYCLE_1)
	s_sub_co_i32 s7, s8, s7
	s_add_co_i32 s8, s3, 1
	s_sub_co_i32 s9, s7, s16
	s_cmp_ge_u32 s7, s16
	s_cselect_b32 s3, s8, s3
	s_cselect_b32 s7, s9, s7
	s_add_co_i32 s8, s3, 1
	s_cmp_ge_u32 s7, s16
	s_cselect_b32 s20, s8, s3
.LBB27_3:
	s_add_co_i32 s8, s2, 1
	s_delay_alu instid0(SALU_CYCLE_1) | instskip(NEXT) | instid1(SALU_CYCLE_1)
	s_ashr_i32 s9, s8, 31
	s_mul_u64 s[8:9], s[18:19], s[8:9]
	s_delay_alu instid0(SALU_CYCLE_1) | instskip(NEXT) | instid1(SALU_CYCLE_1)
	s_and_b64 s[10:11], s[8:9], 0xffffffff00000000
	s_cmp_lg_u64 s[10:11], 0
	s_cbranch_scc0 .LBB27_22
; %bb.4:
	s_add_nc_u64 s[10:11], s[16:17], 0
	s_delay_alu instid0(SALU_CYCLE_1) | instskip(SKIP_4) | instid1(SALU_CYCLE_2)
	s_xor_b64 s[12:13], s[10:11], 0
	s_mov_b32 s11, 0
	s_cvt_f32_u32 s3, s12
	s_cvt_f32_u32 s7, s13
	s_sub_nc_u64 s[24:25], 0, s[12:13]
	s_fmamk_f32 s3, s7, 0x4f800000, s3
	s_delay_alu instid0(SALU_CYCLE_3) | instskip(NEXT) | instid1(TRANS32_DEP_1)
	v_s_rcp_f32 s3, s3
	s_mul_f32 s3, s3, 0x5f7ffffc
	s_delay_alu instid0(SALU_CYCLE_3) | instskip(NEXT) | instid1(SALU_CYCLE_3)
	s_mul_f32 s7, s3, 0x2f800000
	s_trunc_f32 s7, s7
	s_delay_alu instid0(SALU_CYCLE_3) | instskip(SKIP_1) | instid1(SALU_CYCLE_2)
	s_fmamk_f32 s3, s7, 0xcf800000, s3
	s_cvt_u32_f32 s23, s7
	s_cvt_u32_f32 s22, s3
	s_delay_alu instid0(SALU_CYCLE_3) | instskip(NEXT) | instid1(SALU_CYCLE_1)
	s_mul_u64 s[26:27], s[24:25], s[22:23]
	s_mul_hi_u32 s29, s22, s27
	s_mul_i32 s28, s22, s27
	s_mul_hi_u32 s10, s22, s26
	s_mul_i32 s7, s23, s26
	s_add_nc_u64 s[28:29], s[10:11], s[28:29]
	s_mul_hi_u32 s3, s23, s26
	s_mul_hi_u32 s14, s23, s27
	s_add_co_u32 s7, s28, s7
	s_add_co_ci_u32 s10, s29, s3
	s_mul_i32 s26, s23, s27
	s_add_co_ci_u32 s27, s14, 0
	s_delay_alu instid0(SALU_CYCLE_1) | instskip(NEXT) | instid1(SALU_CYCLE_1)
	s_add_nc_u64 s[26:27], s[10:11], s[26:27]
	s_add_co_u32 s22, s22, s26
	s_cselect_b32 s3, -1, 0
	s_delay_alu instid0(SALU_CYCLE_1) | instskip(SKIP_1) | instid1(SALU_CYCLE_1)
	s_cmp_lg_u32 s3, 0
	s_add_co_ci_u32 s23, s23, s27
	s_mul_u64 s[24:25], s[24:25], s[22:23]
	s_delay_alu instid0(SALU_CYCLE_1)
	s_mul_hi_u32 s27, s22, s25
	s_mul_i32 s26, s22, s25
	s_mul_hi_u32 s10, s22, s24
	s_mul_i32 s7, s23, s24
	s_add_nc_u64 s[26:27], s[10:11], s[26:27]
	s_mul_hi_u32 s3, s23, s24
	s_mul_hi_u32 s14, s23, s25
	s_add_co_u32 s7, s26, s7
	s_add_co_ci_u32 s10, s27, s3
	s_mul_i32 s24, s23, s25
	s_add_co_ci_u32 s25, s14, 0
	s_delay_alu instid0(SALU_CYCLE_1) | instskip(NEXT) | instid1(SALU_CYCLE_1)
	s_add_nc_u64 s[24:25], s[10:11], s[24:25]
	s_add_co_u32 s3, s22, s24
	s_cselect_b32 s7, -1, 0
	s_delay_alu instid0(SALU_CYCLE_1) | instskip(SKIP_2) | instid1(SALU_CYCLE_1)
	s_cmp_lg_u32 s7, 0
	s_add_co_ci_u32 s7, s23, s25
	s_ashr_i32 s22, s9, 31
	s_mov_b32 s23, s22
	s_delay_alu instid0(SALU_CYCLE_1) | instskip(NEXT) | instid1(SALU_CYCLE_1)
	s_add_nc_u64 s[24:25], s[8:9], s[22:23]
	s_xor_b64 s[24:25], s[24:25], s[22:23]
	s_delay_alu instid0(SALU_CYCLE_1)
	s_mul_hi_u32 s27, s24, s7
	s_mul_i32 s26, s24, s7
	s_mul_hi_u32 s10, s24, s3
	s_mul_hi_u32 s14, s25, s3
	s_mul_i32 s3, s25, s3
	s_add_nc_u64 s[26:27], s[10:11], s[26:27]
	s_mul_hi_u32 s9, s25, s7
	s_add_co_u32 s3, s26, s3
	s_add_co_ci_u32 s10, s27, s14
	s_mul_i32 s28, s25, s7
	s_add_co_ci_u32 s29, s9, 0
	s_delay_alu instid0(SALU_CYCLE_1) | instskip(NEXT) | instid1(SALU_CYCLE_1)
	s_add_nc_u64 s[26:27], s[10:11], s[28:29]
	s_and_b64 s[28:29], s[26:27], 0xffffffff00000000
	s_delay_alu instid0(SALU_CYCLE_1) | instskip(NEXT) | instid1(SALU_CYCLE_1)
	s_or_b32 s28, s28, s26
	s_mul_u64 s[26:27], s[12:13], s[28:29]
	s_add_nc_u64 s[30:31], s[28:29], 1
	s_sub_co_u32 s3, s24, s26
	s_cselect_b32 s7, -1, 0
	s_sub_co_i32 s9, s25, s27
	s_cmp_lg_u32 s7, 0
	s_add_nc_u64 s[34:35], s[28:29], 2
	s_sub_co_ci_u32 s9, s9, s13
	s_sub_co_u32 s10, s3, s12
	s_cselect_b32 s14, -1, 0
	s_delay_alu instid0(SALU_CYCLE_1) | instskip(SKIP_1) | instid1(SALU_CYCLE_1)
	s_cmp_lg_u32 s14, 0
	s_sub_co_ci_u32 s9, s9, 0
	s_cmp_ge_u32 s9, s13
	s_cselect_b32 s14, -1, 0
	s_cmp_ge_u32 s10, s12
	s_cselect_b32 s10, -1, 0
	s_cmp_eq_u32 s9, s13
	s_cselect_b32 s9, s10, s14
	s_delay_alu instid0(SALU_CYCLE_1) | instskip(SKIP_4) | instid1(SALU_CYCLE_1)
	s_cmp_lg_u32 s9, 0
	s_cselect_b32 s9, s34, s30
	s_cselect_b32 s10, s35, s31
	s_cmp_lg_u32 s7, 0
	s_sub_co_ci_u32 s7, s25, s27
	s_cmp_ge_u32 s7, s13
	s_cselect_b32 s14, -1, 0
	s_cmp_ge_u32 s3, s12
	s_cselect_b32 s3, -1, 0
	s_cmp_eq_u32 s7, s13
	s_cselect_b32 s3, s3, s14
	s_delay_alu instid0(SALU_CYCLE_1) | instskip(SKIP_3) | instid1(SALU_CYCLE_1)
	s_cmp_lg_u32 s3, 0
	s_cselect_b32 s13, s10, s29
	s_cselect_b32 s12, s9, s28
	s_xor_b64 s[22:23], s[22:23], 0
	s_xor_b64 s[12:13], s[12:13], s[22:23]
	s_delay_alu instid0(SALU_CYCLE_1)
	s_sub_nc_u64 s[24:25], s[12:13], s[22:23]
	s_load_b96 s[12:14], s[0:1], 0x44
	s_cbranch_execnz .LBB27_6
.LBB27_5:
	v_cvt_f32_u32_e32 v1, s16
	s_sub_co_i32 s7, 0, s16
	s_delay_alu instid0(VALU_DEP_1) | instskip(SKIP_1) | instid1(TRANS32_DEP_1)
	v_rcp_iflag_f32_e32 v1, v1
	v_nop
	v_mul_f32_e32 v1, 0x4f7ffffe, v1
	s_delay_alu instid0(VALU_DEP_1) | instskip(NEXT) | instid1(VALU_DEP_1)
	v_cvt_u32_f32_e32 v1, v1
	v_readfirstlane_b32 s3, v1
	s_mul_i32 s7, s7, s3
	s_delay_alu instid0(SALU_CYCLE_1) | instskip(NEXT) | instid1(SALU_CYCLE_1)
	s_mul_hi_u32 s7, s3, s7
	s_add_co_i32 s3, s3, s7
	s_delay_alu instid0(SALU_CYCLE_1) | instskip(NEXT) | instid1(SALU_CYCLE_1)
	s_mul_hi_u32 s3, s8, s3
	s_mul_i32 s7, s3, s16
	s_delay_alu instid0(SALU_CYCLE_1)
	s_sub_co_i32 s7, s8, s7
	s_add_co_i32 s8, s3, 1
	s_sub_co_i32 s9, s7, s16
	s_cmp_ge_u32 s7, s16
	s_cselect_b32 s3, s8, s3
	s_cselect_b32 s7, s9, s7
	s_add_co_i32 s8, s3, 1
	s_cmp_ge_u32 s7, s16
	s_cselect_b32 s24, s8, s3
.LBB27_6:
	s_delay_alu instid0(SALU_CYCLE_1)
	s_cmp_eq_u32 s20, s24
	s_mov_b64 s[8:9], 0xffffffff
	s_cselect_b32 s3, -1, 0
	s_and_b64 s[8:9], s[20:21], s[8:9]
	s_mov_b32 s23, 0
	s_wait_kmcnt 0x0
	s_mov_b32 s22, s12
	s_mov_b32 s25, s23
	s_mul_u64 s[10:11], s[8:9], s[22:23]
	s_delay_alu instid0(SALU_CYCLE_1) | instskip(SKIP_2) | instid1(SALU_CYCLE_1)
	s_add_co_i32 s7, s11, s20
	s_mul_u64 s[10:11], s[24:25], s[22:23]
	s_lshr_b32 s12, s7, s13
	s_mul_i32 s7, s12, s14
	s_delay_alu instid0(SALU_CYCLE_1) | instskip(SKIP_2) | instid1(SALU_CYCLE_1)
	s_cmp_eq_u32 s7, s20
	s_cselect_b32 s7, -1, 0
	s_add_co_i32 s10, s11, s24
	s_lshr_b32 s10, s10, s13
	s_delay_alu instid0(SALU_CYCLE_1)
	s_cmp_eq_u32 s12, s10
	s_mul_i32 s10, s10, s14
	s_cselect_b32 s11, -1, 0
	s_cmp_lg_u32 s10, s24
	s_cselect_b32 s10, -1, 0
	s_or_b32 s3, s3, s7
	s_and_b32 s10, s11, s10
	s_delay_alu instid0(SALU_CYCLE_1) | instskip(NEXT) | instid1(SALU_CYCLE_1)
	s_or_b32 s3, s3, s10
	s_and_b32 vcc_lo, exec_lo, s3
	s_cbranch_vccnz .LBB27_24
; %bb.7:
	s_load_b256 s[24:31], s[0:1], 0x20
	s_bfe_u32 s7, ttmp6, 0x40014
	s_bfe_u32 s33, ttmp6, 0x40010
	s_lshr_b32 s3, ttmp7, 16
	s_add_co_i32 s7, s7, 1
	s_and_b32 s21, ttmp7, 0xffff
	s_add_co_i32 s33, s33, 1
	s_bfe_u32 s10, ttmp6, 0x40008
	s_mul_i32 s7, s3, s7
	s_bfe_u32 s34, ttmp6, 0x40004
	s_mul_i32 s33, s21, s33
	s_mov_b32 s11, s23
	s_add_co_i32 s7, s10, s7
	s_add_co_i32 s34, s34, s33
	s_cmp_eq_u32 s15, 0
	s_cselect_b32 s15, s21, s34
	s_cselect_b32 s3, s3, s7
	s_wait_kmcnt 0x0
	s_mov_b32 s10, s24
	s_delay_alu instid0(SALU_CYCLE_1) | instskip(SKIP_2) | instid1(SALU_CYCLE_1)
	s_mul_u64 s[8:9], s[8:9], s[10:11]
	s_load_b32 s8, s[0:1], 0x40
	s_add_co_i32 s7, s9, s20
	s_lshr_b32 s7, s7, s25
	s_delay_alu instid0(SALU_CYCLE_1) | instskip(NEXT) | instid1(SALU_CYCLE_1)
	s_mul_i32 s9, s7, s26
	s_sub_co_i32 s9, s20, s9
	s_delay_alu instid0(SALU_CYCLE_1) | instskip(NEXT) | instid1(SALU_CYCLE_1)
	s_mul_hi_u32 s10, s9, s27
	s_add_co_i32 s10, s9, s10
	s_delay_alu instid0(SALU_CYCLE_1) | instskip(NEXT) | instid1(SALU_CYCLE_1)
	s_lshr_b32 s21, s10, s28
	s_mul_i32 s10, s21, s29
	s_delay_alu instid0(SALU_CYCLE_1) | instskip(NEXT) | instid1(SALU_CYCLE_1)
	s_sub_co_i32 s10, s9, s10
	s_mul_hi_u32 s9, s10, s30
	s_delay_alu instid0(SALU_CYCLE_1) | instskip(NEXT) | instid1(SALU_CYCLE_1)
	s_add_co_i32 s9, s10, s9
	s_lshr_b32 s24, s9, s31
	s_mov_b32 s9, s23
	s_wait_kmcnt 0x0
	s_mul_i32 s8, s24, s8
	s_delay_alu instid0(SALU_CYCLE_1) | instskip(NEXT) | instid1(SALU_CYCLE_1)
	s_sub_co_i32 s8, s10, s8
	s_mul_u64 s[10:11], s[8:9], s[22:23]
	s_delay_alu instid0(SALU_CYCLE_1) | instskip(NEXT) | instid1(SALU_CYCLE_1)
	s_add_co_i32 s8, s8, s11
	s_lshr_b32 s25, s8, s13
	s_delay_alu instid0(SALU_CYCLE_1) | instskip(NEXT) | instid1(SALU_CYCLE_1)
	s_lshl_b32 s8, s25, 5
	s_add_co_i32 s8, s8, s15
	s_delay_alu instid0(SALU_CYCLE_1) | instskip(SKIP_2) | instid1(SALU_CYCLE_1)
	s_cmp_lt_i32 s8, s4
	s_cselect_b32 s8, -1, 0
	s_add_co_i32 s9, s24, s3
	s_cmp_lt_i32 s9, s6
	s_cselect_b32 s9, -1, 0
	s_delay_alu instid0(SALU_CYCLE_1) | instskip(NEXT) | instid1(SALU_CYCLE_1)
	s_and_b32 s8, s8, s9
	s_and_not1_b32 vcc_lo, exec_lo, s8
	s_cbranch_vccnz .LBB27_24
; %bb.8:
	s_mul_i32 s4, s7, s4
	s_load_b128 s[8:11], s[0:1], 0x0
	s_wait_xcnt 0x0
	s_add_co_i32 s0, s4, s15
	s_mul_i32 s21, s21, s6
	s_mul_i32 s0, s0, s5
	;; [unrolled: 1-line block ×3, first 2 shown]
	s_add_co_i32 s0, s0, s3
	s_lshl_b32 s1, s1, 12
	s_add_co_i32 s0, s0, s21
	s_add_co_i32 s15, s15, s3
	;; [unrolled: 1-line block ×3, first 2 shown]
	v_lshl_or_b32 v6, s15, 7, v0
	s_lshl_b32 s0, s0, 7
	v_cvt_f32_u32_e32 v4, s16
	s_add_co_i32 s1, s1, s0
	s_lshl_b32 s24, s16, 7
	v_or_b32_e32 v2, s1, v0
	s_add_nc_u64 s[0:1], s[16:17], 0
	v_rcp_iflag_f32_e32 v4, v4
	s_xor_b64 s[6:7], s[0:1], 0
	s_lshl_b32 s0, s2, 5
	s_cvt_f32_u32 s3, s6
	s_add_co_i32 s0, s0, s15
	s_cvt_f32_u32 s4, s7
	s_ashr_i32 s1, s0, 31
	s_mov_b32 s25, 0
	s_lshl_b64 s[0:1], s[0:1], 3
	s_fmamk_f32 s3, s4, 0x4f800000, s3
	s_wait_kmcnt 0x0
	s_add_nc_u64 s[0:1], s[10:11], s[0:1]
	s_add_co_i32 s36, s2, -1
	s_load_b64 s[28:29], s[0:1], 0x0
	v_s_rcp_f32 s3, s3
	s_wait_xcnt 0x0
	s_lshl_b64 s[0:1], s[24:25], 2
	s_sub_nc_u64 s[34:35], 0, s[6:7]
	s_add_nc_u64 s[26:27], s[10:11], s[0:1]
	v_mul_f32_e32 v4, 0x4f7ffffe, v4
	s_delay_alu instid0(TRANS32_DEP_1) | instskip(NEXT) | instid1(VALU_DEP_1)
	s_mul_f32 s3, s3, 0x5f7ffffc
	v_cvt_u32_f32_e32 v7, v4
	s_delay_alu instid0(SALU_CYCLE_2) | instskip(NEXT) | instid1(SALU_CYCLE_3)
	s_mul_f32 s4, s3, 0x2f800000
	s_trunc_f32 s4, s4
	s_wait_kmcnt 0x0
	v_mov_b32_e32 v0, s29
	global_load_b32 v1, v2, s[8:9] scale_offset
	v_ashrrev_i32_e32 v3, 31, v2
	s_fmamk_f32 s0, s4, 0xcf800000, s3
	s_cvt_u32_f32 s31, s4
	s_wait_xcnt 0x0
	s_delay_alu instid0(VALU_DEP_1)
	v_lshl_add_u64 v[2:3], v[2:3], 2, s[8:9]
	s_cvt_u32_f32 s30, s0
	s_mov_b64 s[8:9], 0xffffffff
.LBB27_9:                               ; =>This Inner Loop Header: Depth=1
	s_ashr_i32 s37, s36, 31
                                        ; implicit-def: $sgpr40_sgpr41
	s_delay_alu instid0(SALU_CYCLE_1) | instskip(NEXT) | instid1(SALU_CYCLE_1)
	s_mul_u64 s[0:1], s[36:37], s[18:19]
	s_and_b64 s[2:3], s[0:1], 0xffffffff00000000
	s_delay_alu instid0(SALU_CYCLE_1)
	s_cmp_lg_u64 s[2:3], 0
	s_mov_b32 s2, -1
	s_cbranch_scc0 .LBB27_11
; %bb.10:                               ;   in Loop: Header=BB27_9 Depth=1
	s_mul_u64 s[2:3], s[34:35], s[30:31]
	s_delay_alu instid0(SALU_CYCLE_1)
	s_mul_hi_u32 s5, s30, s3
	s_mul_i32 s4, s30, s3
	s_mul_hi_u32 s24, s30, s2
	s_mul_hi_u32 s17, s31, s2
	s_add_nc_u64 s[4:5], s[24:25], s[4:5]
	s_mul_i32 s2, s31, s2
	s_mul_hi_u32 s21, s31, s3
	s_add_co_u32 s2, s4, s2
	s_add_co_ci_u32 s24, s5, s17
	s_add_co_ci_u32 s5, s21, 0
	s_mul_i32 s4, s31, s3
	s_delay_alu instid0(SALU_CYCLE_1) | instskip(NEXT) | instid1(SALU_CYCLE_1)
	s_add_nc_u64 s[2:3], s[24:25], s[4:5]
	s_add_co_u32 s2, s30, s2
	s_cselect_b32 s4, -1, 0
	s_delay_alu instid0(SALU_CYCLE_1) | instskip(SKIP_1) | instid1(SALU_CYCLE_1)
	s_cmp_lg_u32 s4, 0
	s_add_co_ci_u32 s3, s31, s3
	s_mul_u64 s[4:5], s[34:35], s[2:3]
	s_delay_alu instid0(SALU_CYCLE_1)
	s_mul_hi_u32 s39, s2, s5
	s_mul_i32 s38, s2, s5
	s_mul_hi_u32 s24, s2, s4
	s_mul_hi_u32 s17, s3, s4
	s_mul_i32 s4, s3, s4
	s_add_nc_u64 s[38:39], s[24:25], s[38:39]
	s_mul_hi_u32 s21, s3, s5
	s_add_co_u32 s4, s38, s4
	s_add_co_ci_u32 s24, s39, s17
	s_mul_i32 s4, s3, s5
	s_add_co_ci_u32 s5, s21, 0
	s_delay_alu instid0(SALU_CYCLE_1) | instskip(NEXT) | instid1(SALU_CYCLE_1)
	s_add_nc_u64 s[4:5], s[24:25], s[4:5]
	s_add_co_u32 s17, s2, s4
	s_cselect_b32 s2, -1, 0
	s_delay_alu instid0(SALU_CYCLE_1) | instskip(SKIP_2) | instid1(SALU_CYCLE_1)
	s_cmp_lg_u32 s2, 0
	s_add_co_ci_u32 s21, s3, s5
	s_ashr_i32 s2, s1, 31
	s_mov_b32 s3, s2
	s_delay_alu instid0(SALU_CYCLE_1) | instskip(NEXT) | instid1(SALU_CYCLE_1)
	s_add_nc_u64 s[4:5], s[0:1], s[2:3]
	s_xor_b64 s[4:5], s[4:5], s[2:3]
	s_delay_alu instid0(SALU_CYCLE_1)
	s_mul_hi_u32 s39, s4, s21
	s_mul_i32 s38, s4, s21
	s_mul_hi_u32 s24, s4, s17
	s_mul_hi_u32 s29, s5, s17
	s_mul_i32 s17, s5, s17
	s_add_nc_u64 s[38:39], s[24:25], s[38:39]
	s_mul_hi_u32 s1, s5, s21
	s_add_co_u32 s17, s38, s17
	s_add_co_ci_u32 s24, s39, s29
	s_mul_i32 s40, s5, s21
	s_add_co_ci_u32 s41, s1, 0
	s_delay_alu instid0(SALU_CYCLE_1) | instskip(NEXT) | instid1(SALU_CYCLE_1)
	s_add_nc_u64 s[38:39], s[24:25], s[40:41]
	s_and_b64 s[40:41], s[38:39], 0xffffffff00000000
	s_delay_alu instid0(SALU_CYCLE_1) | instskip(NEXT) | instid1(SALU_CYCLE_1)
	s_or_b32 s40, s40, s38
	s_mul_u64 s[38:39], s[6:7], s[40:41]
	s_add_nc_u64 s[42:43], s[40:41], 1
	s_sub_co_u32 s1, s4, s38
	s_cselect_b32 s4, -1, 0
	s_sub_co_i32 s17, s5, s39
	s_cmp_lg_u32 s4, 0
	s_add_nc_u64 s[44:45], s[40:41], 2
	s_sub_co_ci_u32 s17, s17, s7
	s_sub_co_u32 s21, s1, s6
	s_cselect_b32 s24, -1, 0
	s_delay_alu instid0(SALU_CYCLE_1) | instskip(SKIP_1) | instid1(SALU_CYCLE_1)
	s_cmp_lg_u32 s24, 0
	s_sub_co_ci_u32 s17, s17, 0
	s_cmp_ge_u32 s17, s7
	s_cselect_b32 s24, -1, 0
	s_cmp_ge_u32 s21, s6
	s_cselect_b32 s21, -1, 0
	s_cmp_eq_u32 s17, s7
	s_cselect_b32 s17, s21, s24
	s_delay_alu instid0(SALU_CYCLE_1) | instskip(SKIP_4) | instid1(SALU_CYCLE_1)
	s_cmp_lg_u32 s17, 0
	s_cselect_b32 s17, s44, s42
	s_cselect_b32 s21, s45, s43
	s_cmp_lg_u32 s4, 0
	s_sub_co_ci_u32 s4, s5, s39
	s_cmp_ge_u32 s4, s7
	s_cselect_b32 s5, -1, 0
	s_cmp_ge_u32 s1, s6
	s_cselect_b32 s1, -1, 0
	s_cmp_eq_u32 s4, s7
	s_cselect_b32 s1, s1, s5
	s_delay_alu instid0(SALU_CYCLE_1) | instskip(SKIP_3) | instid1(SALU_CYCLE_1)
	s_cmp_lg_u32 s1, 0
	s_cselect_b32 s5, s21, s41
	s_cselect_b32 s4, s17, s40
	s_xor_b64 s[2:3], s[2:3], 0
	s_xor_b64 s[4:5], s[4:5], s[2:3]
	s_delay_alu instid0(SALU_CYCLE_1)
	s_sub_nc_u64 s[40:41], s[4:5], s[2:3]
	s_mov_b32 s2, 0
.LBB27_11:                              ;   in Loop: Header=BB27_9 Depth=1
	s_delay_alu instid0(SALU_CYCLE_1)
	s_and_not1_b32 vcc_lo, exec_lo, s2
	s_cbranch_vccnz .LBB27_13
; %bb.12:                               ;   in Loop: Header=BB27_9 Depth=1
	v_readfirstlane_b32 s1, v7
	s_sub_co_i32 s2, 0, s16
	s_delay_alu instid0(SALU_CYCLE_1) | instskip(NEXT) | instid1(SALU_CYCLE_1)
	s_mul_i32 s2, s2, s1
	s_mul_hi_u32 s2, s1, s2
	s_delay_alu instid0(SALU_CYCLE_1) | instskip(NEXT) | instid1(SALU_CYCLE_1)
	s_add_co_i32 s1, s1, s2
	s_mul_hi_u32 s1, s0, s1
	s_delay_alu instid0(SALU_CYCLE_1) | instskip(NEXT) | instid1(SALU_CYCLE_1)
	s_mul_i32 s2, s1, s16
	s_sub_co_i32 s0, s0, s2
	s_add_co_i32 s2, s1, 1
	s_sub_co_i32 s3, s0, s16
	s_cmp_ge_u32 s0, s16
	s_cselect_b32 s1, s2, s1
	s_cselect_b32 s0, s3, s0
	s_add_co_i32 s2, s1, 1
	s_cmp_ge_u32 s0, s16
	s_cselect_b32 s24, s2, s1
	s_delay_alu instid0(SALU_CYCLE_1)
	s_mov_b64 s[40:41], s[24:25]
.LBB27_13:                              ;   in Loop: Header=BB27_9 Depth=1
	s_delay_alu instid0(SALU_CYCLE_1)
	s_cmp_lg_u32 s20, s40
	s_mov_b32 s0, -1
                                        ; implicit-def: $vgpr4_vgpr5
                                        ; implicit-def: $sgpr24
                                        ; implicit-def: $sgpr17
                                        ; implicit-def: $sgpr21
                                        ; implicit-def: $sgpr29
	s_cbranch_scc0 .LBB27_18
; %bb.14:                               ;   in Loop: Header=BB27_9 Depth=1
	s_add_co_i32 s0, s36, s16
	v_max_num_f32_e64 v4, s28, s28
	s_lshl_b32 s0, s0, 5
	s_mov_b32 s29, s20
	s_add_co_i32 s0, s0, s15
	s_load_b64 s[38:39], s[10:11], s0 offset:0x0 scale_offset
	s_wait_xcnt 0x0
	v_readfirstlane_b32 s0, v4
	s_wait_kmcnt 0x0
	v_max_num_f32_e64 v5, s38, s38
	s_delay_alu instid0(VALU_DEP_1) | instskip(SKIP_1) | instid1(SALU_CYCLE_3)
	v_readfirstlane_b32 s1, v5
	s_max_num_f32 s17, s0, s1
	s_sub_f32 s33, s28, s17
	s_sub_f32 s37, s38, s17
	s_delay_alu instid0(SALU_CYCLE_2)
	s_cmp_nlt_f32 s33, 0xc2ce8ed0
	s_cselect_b32 s1, -1, 0
	s_cmp_ngt_f32 s33, 0x42b17218
	s_cselect_b32 s2, -1, 0
	s_cmp_ge_f32 s33, 0xc1a00000
	s_cselect_b32 s0, -1, 0
	s_cmp_nlt_f32 s37, 0xc2ce8ed0
	s_cselect_b32 s3, -1, 0
	s_cmp_ngt_f32 s37, 0x42b17218
	s_cselect_b32 s4, -1, 0
	s_cmp_ge_f32 s37, 0xc1a00000
	s_cselect_b32 s5, -1, 0
	s_and_b64 s[42:43], s[40:41], s[8:9]
	s_delay_alu instid0(SALU_CYCLE_1) | instskip(NEXT) | instid1(SALU_CYCLE_1)
	s_mul_u64 s[42:43], s[42:43], s[22:23]
	s_add_co_i32 s21, s43, s40
	s_delay_alu instid0(SALU_CYCLE_1) | instskip(NEXT) | instid1(SALU_CYCLE_1)
	s_lshr_b32 s21, s21, s13
	s_mul_i32 s24, s21, s14
	s_delay_alu instid0(SALU_CYCLE_1) | instskip(SKIP_3) | instid1(SALU_CYCLE_1)
	s_cmp_eq_u32 s24, s40
	s_cselect_b32 s24, -1, 0
	s_cmp_lt_u32 s21, s12
	s_cselect_b32 s21, -1, 0
	s_or_b32 s21, s21, s24
	s_mov_b32 s24, -1
	s_and_b32 vcc_lo, exec_lo, s21
	s_mov_b32 s21, s36
	s_cbranch_vccnz .LBB27_16
; %bb.15:                               ;   in Loop: Header=BB27_9 Depth=1
	s_add_co_i32 s21, s36, -1
	s_mov_b32 s24, 0
	s_mov_b32 s29, s40
.LBB27_16:                              ;   in Loop: Header=BB27_9 Depth=1
	v_lshl_add_u32 v4, s36, 12, v6
	s_mul_f32 s40, s33, 0x3fb8aa3b
	s_mul_f32 s38, s37, 0x3fb8aa3b
	s_delay_alu instid0(SALU_CYCLE_2)
	s_xor_b32 s42, s40, 0x80000000
	global_load_b32 v5, v4, s[26:27] scale_offset
	s_fmamk_f32 s42, s33, 0x3fb8aa3b, s42
	s_rndne_f32 s44, s40
	s_xor_b32 s41, s38, 0x80000000
	s_rndne_f32 s43, s38
	s_fmamk_f32 s33, s33, 0x32a5705f, s42
	s_sub_f32 s40, s40, s44
	s_fmamk_f32 s41, s37, 0x3fb8aa3b, s41
	s_sub_f32 s38, s38, s43
	s_delay_alu instid0(SALU_CYCLE_1) | instskip(NEXT) | instid1(SALU_CYCLE_1)
	s_add_f32 s33, s40, s33
	s_fmamk_f32 s37, s37, 0x32a5705f, s41
	s_cvt_i32_f32 s40, s44
	s_delay_alu instid0(SALU_CYCLE_1) | instskip(NEXT) | instid1(SALU_CYCLE_1)
	v_s_exp_f32 s33, s33
	s_add_f32 s37, s38, s37
	s_cvt_i32_f32 s38, s43
	s_delay_alu instid0(SALU_CYCLE_2) | instskip(NEXT) | instid1(TRANS32_DEP_2)
	v_s_exp_f32 s37, s37
	v_ldexp_f32 v8, s33, s40
	s_wait_xcnt 0x0
	s_delay_alu instid0(TRANS32_DEP_1) | instskip(NEXT) | instid1(VALU_DEP_2)
	v_ldexp_f32 v4, s37, s38
	v_cndmask_b32_e64 v8, 0, v8, s1
	s_delay_alu instid0(VALU_DEP_1) | instskip(NEXT) | instid1(VALU_DEP_1)
	v_cndmask_b32_e64 v9, 0x7f800000, v8, s2
	v_dual_cndmask_b32 v4, 0, v4, s3 :: v_dual_cndmask_b32 v10, 0, v9, s0
	s_delay_alu instid0(VALU_DEP_1) | instskip(NEXT) | instid1(VALU_DEP_1)
	v_cndmask_b32_e64 v4, 0x7f800000, v4, s4
	v_dual_cndmask_b32 v8, 0, v4, s5 :: v_dual_mov_b32 v4, s39
	s_wait_loadcnt 0x0
	s_delay_alu instid0(VALU_DEP_1) | instskip(NEXT) | instid1(VALU_DEP_1)
	v_pk_mul_f32 v[4:5], v[4:5], v[8:9] op_sel_hi:[1,0]
	v_pk_fma_f32 v[4:5], v[0:1], v[10:11], v[4:5] op_sel_hi:[1,0,1]
	s_cbranch_execz .LBB27_19
.LBB27_17:                              ;   in Loop: Header=BB27_9 Depth=1
	s_and_not1_b32 vcc_lo, exec_lo, s24
	s_cbranch_vccnz .LBB27_20
	s_branch .LBB27_23
.LBB27_18:                              ;   in Loop: Header=BB27_9 Depth=1
	s_and_not1_b32 vcc_lo, exec_lo, s0
	s_cbranch_vccnz .LBB27_17
.LBB27_19:                              ;   in Loop: Header=BB27_9 Depth=1
	s_wait_loadcnt 0x0
	v_mov_b64_e32 v[4:5], v[0:1]
	s_add_co_i32 s21, s36, -1
	s_mov_b32 s29, s20
	s_mov_b32 s17, s28
	s_cbranch_execz .LBB27_23
.LBB27_20:                              ;   in Loop: Header=BB27_9 Depth=1
	s_wait_loadcnt 0x0
	s_delay_alu instid0(VALU_DEP_1)
	v_mov_b64_e32 v[0:1], v[4:5]
	s_mov_b32 s20, s29
	s_mov_b32 s36, s21
	;; [unrolled: 1-line block ×3, first 2 shown]
	s_branch .LBB27_9
.LBB27_21:
                                        ; implicit-def: $sgpr20_sgpr21
	s_branch .LBB27_2
.LBB27_22:
                                        ; implicit-def: $sgpr24_sgpr25
	s_load_b96 s[12:14], s[0:1], 0x44
	s_branch .LBB27_5
.LBB27_23:
	s_delay_alu instid0(VALU_DEP_1) | instskip(SKIP_1) | instid1(VALU_DEP_1)
	v_div_scale_f32 v0, null, v4, v4, v5
	s_wait_loadcnt 0x0
	v_rcp_f32_e32 v1, v0
	v_nop
	s_delay_alu instid0(TRANS32_DEP_1) | instskip(NEXT) | instid1(VALU_DEP_1)
	v_fma_f32 v6, -v0, v1, 1.0
	v_fmac_f32_e32 v1, v6, v1
	v_div_scale_f32 v6, vcc_lo, v5, v4, v5
	s_delay_alu instid0(VALU_DEP_1) | instskip(NEXT) | instid1(VALU_DEP_1)
	v_mul_f32_e32 v7, v6, v1
	v_fma_f32 v8, -v0, v7, v6
	s_delay_alu instid0(VALU_DEP_1) | instskip(NEXT) | instid1(VALU_DEP_1)
	v_fmac_f32_e32 v7, v8, v1
	v_fma_f32 v0, -v0, v7, v6
	s_delay_alu instid0(VALU_DEP_1) | instskip(NEXT) | instid1(VALU_DEP_1)
	v_div_fmas_f32 v0, v0, v1, v7
	v_div_fixup_f32 v0, v0, v4, v5
	global_store_b32 v[2:3], v0, off
.LBB27_24:
	s_endpgm
	.section	.rodata,"a",@progbits
	.p2align	6, 0x0
	.amdhsa_kernel _ZL33flash_attn_stream_k_fixup_generalILi128ELi32ELi1EEvPfPK15HIP_vector_typeIfLj2EEiiiiS1_IjLj3EES5_S5_S5_
		.amdhsa_group_segment_fixed_size 0
		.amdhsa_private_segment_fixed_size 0
		.amdhsa_kernarg_size 336
		.amdhsa_user_sgpr_count 2
		.amdhsa_user_sgpr_dispatch_ptr 0
		.amdhsa_user_sgpr_queue_ptr 0
		.amdhsa_user_sgpr_kernarg_segment_ptr 1
		.amdhsa_user_sgpr_dispatch_id 0
		.amdhsa_user_sgpr_kernarg_preload_length 0
		.amdhsa_user_sgpr_kernarg_preload_offset 0
		.amdhsa_user_sgpr_private_segment_size 0
		.amdhsa_wavefront_size32 1
		.amdhsa_uses_dynamic_stack 0
		.amdhsa_enable_private_segment 0
		.amdhsa_system_sgpr_workgroup_id_x 1
		.amdhsa_system_sgpr_workgroup_id_y 1
		.amdhsa_system_sgpr_workgroup_id_z 1
		.amdhsa_system_sgpr_workgroup_info 0
		.amdhsa_system_vgpr_workitem_id 0
		.amdhsa_next_free_vgpr 12
		.amdhsa_next_free_sgpr 46
		.amdhsa_named_barrier_count 0
		.amdhsa_reserve_vcc 1
		.amdhsa_float_round_mode_32 0
		.amdhsa_float_round_mode_16_64 0
		.amdhsa_float_denorm_mode_32 3
		.amdhsa_float_denorm_mode_16_64 3
		.amdhsa_fp16_overflow 0
		.amdhsa_memory_ordered 1
		.amdhsa_forward_progress 1
		.amdhsa_inst_pref_size 27
		.amdhsa_round_robin_scheduling 0
		.amdhsa_exception_fp_ieee_invalid_op 0
		.amdhsa_exception_fp_denorm_src 0
		.amdhsa_exception_fp_ieee_div_zero 0
		.amdhsa_exception_fp_ieee_overflow 0
		.amdhsa_exception_fp_ieee_underflow 0
		.amdhsa_exception_fp_ieee_inexact 0
		.amdhsa_exception_int_div_zero 0
	.end_amdhsa_kernel
	.section	.text._ZL33flash_attn_stream_k_fixup_generalILi128ELi32ELi1EEvPfPK15HIP_vector_typeIfLj2EEiiiiS1_IjLj3EES5_S5_S5_,"axG",@progbits,_ZL33flash_attn_stream_k_fixup_generalILi128ELi32ELi1EEvPfPK15HIP_vector_typeIfLj2EEiiiiS1_IjLj3EES5_S5_S5_,comdat
.Lfunc_end27:
	.size	_ZL33flash_attn_stream_k_fixup_generalILi128ELi32ELi1EEvPfPK15HIP_vector_typeIfLj2EEiiiiS1_IjLj3EES5_S5_S5_, .Lfunc_end27-_ZL33flash_attn_stream_k_fixup_generalILi128ELi32ELi1EEvPfPK15HIP_vector_typeIfLj2EEiiiiS1_IjLj3EES5_S5_S5_
                                        ; -- End function
	.set _ZL33flash_attn_stream_k_fixup_generalILi128ELi32ELi1EEvPfPK15HIP_vector_typeIfLj2EEiiiiS1_IjLj3EES5_S5_S5_.num_vgpr, 12
	.set _ZL33flash_attn_stream_k_fixup_generalILi128ELi32ELi1EEvPfPK15HIP_vector_typeIfLj2EEiiiiS1_IjLj3EES5_S5_S5_.num_agpr, 0
	.set _ZL33flash_attn_stream_k_fixup_generalILi128ELi32ELi1EEvPfPK15HIP_vector_typeIfLj2EEiiiiS1_IjLj3EES5_S5_S5_.numbered_sgpr, 46
	.set _ZL33flash_attn_stream_k_fixup_generalILi128ELi32ELi1EEvPfPK15HIP_vector_typeIfLj2EEiiiiS1_IjLj3EES5_S5_S5_.num_named_barrier, 0
	.set _ZL33flash_attn_stream_k_fixup_generalILi128ELi32ELi1EEvPfPK15HIP_vector_typeIfLj2EEiiiiS1_IjLj3EES5_S5_S5_.private_seg_size, 0
	.set _ZL33flash_attn_stream_k_fixup_generalILi128ELi32ELi1EEvPfPK15HIP_vector_typeIfLj2EEiiiiS1_IjLj3EES5_S5_S5_.uses_vcc, 1
	.set _ZL33flash_attn_stream_k_fixup_generalILi128ELi32ELi1EEvPfPK15HIP_vector_typeIfLj2EEiiiiS1_IjLj3EES5_S5_S5_.uses_flat_scratch, 0
	.set _ZL33flash_attn_stream_k_fixup_generalILi128ELi32ELi1EEvPfPK15HIP_vector_typeIfLj2EEiiiiS1_IjLj3EES5_S5_S5_.has_dyn_sized_stack, 0
	.set _ZL33flash_attn_stream_k_fixup_generalILi128ELi32ELi1EEvPfPK15HIP_vector_typeIfLj2EEiiiiS1_IjLj3EES5_S5_S5_.has_recursion, 0
	.set _ZL33flash_attn_stream_k_fixup_generalILi128ELi32ELi1EEvPfPK15HIP_vector_typeIfLj2EEiiiiS1_IjLj3EES5_S5_S5_.has_indirect_call, 0
	.section	.AMDGPU.csdata,"",@progbits
; Kernel info:
; codeLenInByte = 3352
; TotalNumSgprs: 48
; NumVgprs: 12
; ScratchSize: 0
; MemoryBound: 0
; FloatMode: 240
; IeeeMode: 1
; LDSByteSize: 0 bytes/workgroup (compile time only)
; SGPRBlocks: 0
; VGPRBlocks: 0
; NumSGPRsForWavesPerEU: 48
; NumVGPRsForWavesPerEU: 12
; NamedBarCnt: 0
; Occupancy: 16
; WaveLimiterHint : 0
; COMPUTE_PGM_RSRC2:SCRATCH_EN: 0
; COMPUTE_PGM_RSRC2:USER_SGPR: 2
; COMPUTE_PGM_RSRC2:TRAP_HANDLER: 0
; COMPUTE_PGM_RSRC2:TGID_X_EN: 1
; COMPUTE_PGM_RSRC2:TGID_Y_EN: 1
; COMPUTE_PGM_RSRC2:TGID_Z_EN: 1
; COMPUTE_PGM_RSRC2:TIDIG_COMP_CNT: 0
	.section	.text._ZL26flash_attn_combine_resultsILi128EEvPKfPK15HIP_vector_typeIfLj2EEPfi,"axG",@progbits,_ZL26flash_attn_combine_resultsILi128EEvPKfPK15HIP_vector_typeIfLj2EEPfi,comdat
	.globl	_ZL26flash_attn_combine_resultsILi128EEvPKfPK15HIP_vector_typeIfLj2EEPfi ; -- Begin function _ZL26flash_attn_combine_resultsILi128EEvPKfPK15HIP_vector_typeIfLj2EEPfi
	.p2align	8
	.type	_ZL26flash_attn_combine_resultsILi128EEvPKfPK15HIP_vector_typeIfLj2EEPfi,@function
_ZL26flash_attn_combine_resultsILi128EEvPKfPK15HIP_vector_typeIfLj2EEPfi: ; @_ZL26flash_attn_combine_resultsILi128EEvPKfPK15HIP_vector_typeIfLj2EEPfi
; %bb.0:
	s_clause 0x2
	s_load_b128 s[4:7], s[0:1], 0x0
	s_load_b96 s[8:10], s[0:1], 0x10
	s_load_b64 s[2:3], s[0:1], 0x20
	s_bfe_u32 s11, ttmp6, 0x4000c
	s_wait_xcnt 0x0
	s_and_b32 s0, ttmp6, 15
	s_add_co_i32 s11, s11, 1
	s_and_b32 s12, ttmp7, 0xffff
	s_mul_i32 s1, ttmp9, s11
	s_bfe_u32 s11, ttmp6, 0x40010
	s_bfe_u32 s13, ttmp6, 0x40014
	s_add_co_i32 s11, s11, 1
	s_add_co_i32 s0, s0, s1
	s_mul_i32 s1, s12, s11
	s_bfe_u32 s11, ttmp6, 0x40004
	s_lshr_b32 s14, ttmp7, 16
	s_add_co_i32 s13, s13, 1
	s_add_co_i32 s11, s11, s1
	s_mul_i32 s1, s14, s13
	s_bfe_u32 s13, ttmp6, 0x40008
	s_getreg_b32 s15, hwreg(HW_REG_IB_STS2, 6, 4)
	s_add_co_i32 s13, s13, s1
	s_cmp_eq_u32 s15, 0
	v_mov_b32_e32 v2, v0
	s_cselect_b32 s1, s14, s13
	s_cselect_b32 s0, ttmp9, s0
	s_wait_kmcnt 0x0
	s_mul_i32 s1, s2, s1
	s_cselect_b32 s2, s12, s11
	s_add_co_i32 s0, s1, s0
	s_lshl_b32 s12, s10, 1
	s_mul_i32 s11, s0, s3
	s_mov_b32 s13, exec_lo
	s_add_co_i32 s11, s11, s2
	s_delay_alu instid0(SALU_CYCLE_1)
	s_mul_i32 s2, s11, s10
	v_cmpx_gt_i32_e64 s12, v0
	s_cbranch_execz .LBB28_13
; %bb.1:
	v_xad_u32 v1, v0, -1, s12
	s_ashr_i32 s3, s2, 31
	s_mov_b32 s0, -1
	s_mov_b32 s14, exec_lo
	s_delay_alu instid0(VALU_DEP_1)
	v_cmpx_lt_u32_e32 0x7f, v1
	s_cbranch_execz .LBB28_10
; %bb.2:
	v_lshrrev_b32_e32 v6, 7, v1
	v_or_b32_e32 v1, 0x80, v0
	s_lshl_b64 s[0:1], s[2:3], 3
	v_mov_b32_e32 v4, 0
	s_add_nc_u64 s[0:1], s[6:7], s[0:1]
	v_add_nc_u32_e32 v2, -1, v6
	s_delay_alu instid0(VALU_DEP_1) | instskip(SKIP_1) | instid1(VALU_DEP_2)
	v_lshrrev_b32_e32 v3, 1, v2
	v_cmp_lt_u32_e32 vcc_lo, 13, v2
	v_add_nc_u32_e32 v7, 1, v3
	v_mov_b64_e32 v[2:3], v[0:1]
	s_and_saveexec_b32 s15, vcc_lo
	s_cbranch_execz .LBB28_6
; %bb.3:
	v_mov_b64_e32 v[2:3], v[0:1]
	v_dual_mov_b32 v5, 0 :: v_dual_bitop2_b32 v8, -8, v7 bitop3:0x40
	v_lshl_add_u32 v9, v0, 2, 0
	s_mov_b32 s16, 0
	s_mov_b32 s17, 0
.LBB28_4:                               ; =>This Inner Loop Header: Depth=1
	s_delay_alu instid0(VALU_DEP_2) | instskip(NEXT) | instid1(VALU_DEP_4)
	v_dual_mov_b32 v4, v2 :: v_dual_mov_b32 v11, v5
	v_dual_mov_b32 v13, v5 :: v_dual_add_nc_u32 v10, 0x100, v3
	v_dual_mov_b32 v15, v5 :: v_dual_add_nc_u32 v12, 0x200, v3
	s_delay_alu instid0(VALU_DEP_3) | instskip(SKIP_1) | instid1(VALU_DEP_4)
	v_lshl_add_u64 v[24:25], v[4:5], 2, s[0:1]
	v_dual_mov_b32 v4, v3 :: v_dual_add_nc_u32 v8, -8, v8
	v_lshl_add_u64 v[10:11], v[10:11], 2, s[0:1]
	v_dual_mov_b32 v17, v5 :: v_dual_add_nc_u32 v14, 0x300, v3
	s_delay_alu instid0(VALU_DEP_3)
	v_lshl_add_u64 v[26:27], v[4:5], 2, s[0:1]
	v_add_nc_u32_e32 v4, 0x100, v2
	global_load_b32 v1, v[24:25], off
	v_lshl_add_u64 v[12:13], v[12:13], 2, s[0:1]
	v_dual_mov_b32 v19, v5 :: v_dual_add_nc_u32 v16, 0x400, v3
	global_load_b32 v28, v[26:27], off
	s_wait_xcnt 0x1
	v_lshl_add_u64 v[24:25], v[4:5], 2, s[0:1]
	v_add_nc_u32_e32 v4, 0x200, v2
	s_clause 0x1
	global_load_b32 v29, v[24:25], off
	global_load_b32 v30, v[10:11], off
	s_wait_xcnt 0x2
	v_lshl_add_u64 v[26:27], v[4:5], 2, s[0:1]
	v_add_nc_u32_e32 v4, 0x300, v2
	s_clause 0x1
	global_load_b32 v24, v[26:27], off
	global_load_b32 v25, v[12:13], off
	s_wait_xcnt 0x2
	v_lshl_add_u64 v[10:11], v[4:5], 2, s[0:1]
	v_add_nc_u32_e32 v4, 0x400, v2
	v_lshl_add_u64 v[14:15], v[14:15], 2, s[0:1]
	s_clause 0x1
	global_load_b32 v26, v[10:11], off
	global_load_b32 v27, v[14:15], off
	s_wait_xcnt 0x2
	v_lshl_add_u64 v[12:13], v[4:5], 2, s[0:1]
	v_add_nc_u32_e32 v4, 0x500, v2
	v_dual_mov_b32 v21, v5 :: v_dual_add_nc_u32 v18, 0x500, v3
	v_lshl_add_u64 v[16:17], v[16:17], 2, s[0:1]
	v_dual_mov_b32 v23, v5 :: v_dual_add_nc_u32 v20, 0x600, v3
	s_wait_xcnt 0x1
	v_lshl_add_u64 v[10:11], v[4:5], 2, s[0:1]
	v_add_nc_u32_e32 v4, 0x600, v2
	s_clause 0x1
	global_load_b32 v14, v[12:13], off
	global_load_b32 v15, v[16:17], off
	v_add_nc_u32_e32 v22, 0x700, v3
	v_lshl_add_u64 v[18:19], v[18:19], 2, s[0:1]
	v_lshl_add_u64 v[20:21], v[20:21], 2, s[0:1]
	s_wait_xcnt 0x1
	v_lshl_add_u64 v[12:13], v[4:5], 2, s[0:1]
	v_add_nc_u32_e32 v4, 0x700, v2
	s_clause 0x1
	global_load_b32 v16, v[10:11], off
	global_load_b32 v17, v[18:19], off
	v_lshl_add_u64 v[22:23], v[22:23], 2, s[0:1]
	s_add_co_i32 s17, s17, 16
	v_cmp_eq_u32_e32 vcc_lo, 0, v8
	s_wait_xcnt 0x1
	v_lshl_add_u64 v[10:11], v[4:5], 2, s[0:1]
	s_clause 0x3
	global_load_b32 v18, v[12:13], off
	global_load_b32 v19, v[20:21], off
	;; [unrolled: 1-line block ×4, first 2 shown]
	v_dual_mov_b32 v4, s17 :: v_dual_add_nc_u32 v3, 0x800, v3
	v_add_nc_u32_e32 v2, 0x800, v2
	s_or_b32 s16, vcc_lo, s16
	s_wait_loadcnt 0xe
	ds_store_2addr_stride64_b32 v9, v1, v28 offset1:2
	s_wait_loadcnt 0xc
	ds_store_2addr_stride64_b32 v9, v29, v30 offset0:4 offset1:6
	s_wait_loadcnt 0xa
	ds_store_2addr_stride64_b32 v9, v24, v25 offset0:8 offset1:10
	;; [unrolled: 2-line block ×7, first 2 shown]
	v_add_nc_u32_e32 v9, 0x2000, v9
	s_wait_xcnt 0x0
	s_and_not1_b32 exec_lo, exec_lo, s16
	s_cbranch_execnz .LBB28_4
; %bb.5:
	s_or_b32 exec_lo, exec_lo, s16
.LBB28_6:
	s_delay_alu instid0(SALU_CYCLE_1) | instskip(SKIP_3) | instid1(VALU_DEP_1)
	s_or_b32 exec_lo, exec_lo, s15
	v_and_b32_e32 v1, 7, v7
	s_mov_b32 s16, 0
	s_mov_b32 s15, exec_lo
	v_cmpx_ne_u32_e32 0, v1
	s_cbranch_execz .LBB28_9
; %bb.7:
	v_lshlrev_b32_e32 v5, 2, v0
	s_delay_alu instid0(VALU_DEP_1) | instskip(NEXT) | instid1(VALU_DEP_1)
	v_lshl_or_b32 v4, v4, 9, v5
	v_dual_mov_b32 v5, 0 :: v_dual_add_nc_u32 v7, 0, v4
.LBB28_8:                               ; =>This Inner Loop Header: Depth=1
	v_dual_mov_b32 v4, v2 :: v_dual_add_nc_u32 v1, -1, v1
	v_add_nc_u32_e32 v2, 0x100, v2
	s_delay_alu instid0(VALU_DEP_2) | instskip(SKIP_1) | instid1(VALU_DEP_4)
	v_lshl_add_u64 v[8:9], v[4:5], 2, s[0:1]
	v_dual_mov_b32 v4, v3 :: v_dual_add_nc_u32 v3, 0x100, v3
	v_cmp_eq_u32_e32 vcc_lo, 0, v1
	s_delay_alu instid0(VALU_DEP_2)
	v_lshl_add_u64 v[10:11], v[4:5], 2, s[0:1]
	s_clause 0x1
	global_load_b32 v4, v[8:9], off
	global_load_b32 v12, v[10:11], off
	s_or_b32 s16, vcc_lo, s16
	s_wait_loadcnt 0x0
	ds_store_2addr_stride64_b32 v7, v4, v12 offset1:2
	v_add_nc_u32_e32 v7, 0x400, v7
	s_and_not1_b32 exec_lo, exec_lo, s16
	s_cbranch_execnz .LBB28_8
.LBB28_9:
	s_or_b32 exec_lo, exec_lo, s15
	v_add_nc_u32_e32 v1, 1, v6
	s_delay_alu instid0(VALU_DEP_1) | instskip(NEXT) | instid1(VALU_DEP_1)
	v_and_b32_e32 v2, 0x3fffffe, v1
	v_cmp_ne_u32_e32 vcc_lo, v1, v2
	v_lshl_or_b32 v2, v2, 7, v0
	s_or_not1_b32 s0, vcc_lo, exec_lo
.LBB28_10:
	s_or_b32 exec_lo, exec_lo, s14
	s_delay_alu instid0(SALU_CYCLE_1)
	s_and_b32 exec_lo, exec_lo, s0
	s_cbranch_execz .LBB28_13
; %bb.11:
	v_mov_b32_e32 v3, 0
	s_lshl_b64 s[0:1], s[2:3], 3
	v_lshl_add_u32 v1, v2, 2, 0
	s_add_nc_u64 s[0:1], s[6:7], s[0:1]
	s_delay_alu instid0(VALU_DEP_2) | instid1(SALU_CYCLE_1)
	v_lshl_add_u64 v[4:5], v[2:3], 2, s[0:1]
	s_mov_b32 s0, 0
.LBB28_12:                              ; =>This Inner Loop Header: Depth=1
	global_load_b32 v3, v[4:5], off
	v_add_nc_u32_e32 v2, 0x80, v2
	s_wait_xcnt 0x0
	v_add_nc_u64_e32 v[4:5], 0x200, v[4:5]
	s_delay_alu instid0(VALU_DEP_2)
	v_cmp_le_i32_e32 vcc_lo, s12, v2
	s_or_b32 s0, vcc_lo, s0
	s_wait_loadcnt 0x0
	ds_store_b32 v1, v3
	v_add_nc_u32_e32 v1, 0x200, v1
	s_and_not1_b32 exec_lo, exec_lo, s0
	s_cbranch_execnz .LBB28_12
.LBB28_13:
	s_or_b32 exec_lo, exec_lo, s13
	v_mov_b32_e32 v1, 0
	s_wait_dscnt 0x0
	s_barrier_signal -1
	s_barrier_wait -1
	ds_load_b32 v1, v1
	s_cmp_lt_i32 s10, 2
	s_wait_dscnt 0x0
	v_readfirstlane_b32 s3, v1
	s_cbranch_scc1 .LBB28_21
; %bb.14:
	s_cmp_eq_u32 s10, 2
	s_cbranch_scc1 .LBB28_18
; %bb.15:
	v_dual_mov_b32 v3, s3 :: v_dual_mov_b32 v4, s3
	s_add_co_i32 s1, s10, -1
	s_add_co_i32 s7, 0, 8
	s_and_b32 s3, s1, -2
	s_mov_b32 s6, 2
.LBB28_16:                              ; =>This Inner Loop Header: Depth=1
	v_dual_mov_b32 v1, s7 :: v_dual_mov_b32 v2, v3
	s_cmp_lg_u32 s3, s6
	s_cselect_b32 s12, -1, 0
	ds_load_2addr_b32 v[6:7], v1 offset1:2
	v_dual_mov_b32 v1, v4 :: v_dual_max_num_f32 v5, v2, v2
	s_delay_alu instid0(VALU_DEP_1)
	v_max_num_f32_e32 v3, v1, v1
	s_wait_dscnt 0x0
	v_cmp_u_f32_e32 vcc_lo, v7, v7
	v_max_num_f32_e32 v7, v7, v7
	v_cndmask_b32_e64 v4, 0, 1, vcc_lo
	v_cmp_u_f32_e32 vcc_lo, v6, v6
	v_max_num_f32_e32 v6, v6, v6
	s_delay_alu instid0(VALU_DEP_3) | instskip(SKIP_1) | instid1(VALU_DEP_3)
	v_readfirstlane_b32 s0, v4
	v_cndmask_b32_e64 v8, 0, 1, vcc_lo
	v_dual_max_num_f32 v4, v3, v7 :: v_dual_max_num_f32 v3, v5, v6
	s_lshl_b32 s0, s0, 1
	s_delay_alu instid0(VALU_DEP_2) | instskip(SKIP_1) | instid1(SALU_CYCLE_1)
	v_readfirstlane_b32 s13, v8
	s_or_b32 s0, s13, s0
	s_and_b32 s13, s0, 3
	s_delay_alu instid0(SALU_CYCLE_1)
	s_cmp_lg_u32 s13, 0
	s_cselect_b32 s0, -1, 0
	s_cmp_eq_u32 s13, 0
	s_cselect_b32 s13, -1, 0
	s_add_co_i32 s6, s6, 2
	s_and_b32 s12, s13, s12
	s_add_co_i32 s7, s7, 16
	s_and_b32 vcc_lo, exec_lo, s12
	s_cbranch_vccnz .LBB28_16
; %bb.17:
	v_dual_cndmask_b32 v2, v3, v2, s0 :: v_dual_cndmask_b32 v1, v4, v1, s0
	s_add_co_i32 s6, s6, -4
	s_and_b32 s7, s0, exec_lo
	s_cselect_b32 s6, s6, s1
	s_delay_alu instid0(VALU_DEP_1) | instskip(SKIP_3) | instid1(VALU_DEP_1)
	v_dual_max_num_f32 v2, v2, v2 :: v_dual_max_num_f32 v1, v1, v1
	s_or_b32 s6, s6, 1
	s_cmp_lg_u32 s1, s3
	s_cselect_b32 s1, -1, 0
	v_readfirstlane_b32 s7, v2
	v_readfirstlane_b32 s12, v1
	s_or_b32 s0, s1, s0
	s_max_num_f32 s3, s7, s12
	s_and_b32 vcc_lo, exec_lo, s0
	s_cbranch_vccnz .LBB28_19
	s_branch .LBB28_21
.LBB28_18:
	s_mov_b32 s6, 1
	s_cbranch_execz .LBB28_21
.LBB28_19:
	s_lshl_b32 s1, s6, 3
	s_sub_co_i32 s0, s10, s6
	s_add_co_i32 s1, s1, 0
.LBB28_20:                              ; =>This Inner Loop Header: Depth=1
	s_delay_alu instid0(SALU_CYCLE_1) | instskip(NEXT) | instid1(SALU_CYCLE_1)
	v_mov_b32_e32 v1, s1
	v_max_num_f32_e64 v2, s3, s3
	s_add_co_i32 s0, s0, -1
	s_add_co_i32 s1, s1, 8
	s_cmp_eq_u32 s0, 0
	ds_load_b32 v1, v1
	v_readfirstlane_b32 s3, v2
	s_wait_dscnt 0x0
	v_max_num_f32_e32 v1, v1, v1
	s_delay_alu instid0(VALU_DEP_1)
	v_readfirstlane_b32 s6, v1
	s_max_num_f32 s3, s3, s6
	s_cbranch_scc0 .LBB28_20
.LBB28_21:
	s_cmp_lt_i32 s10, 1
	s_cbranch_scc1 .LBB28_26
; %bb.22:
	s_lshl_b32 s0, s2, 7
	s_delay_alu instid0(SALU_CYCLE_1) | instskip(NEXT) | instid1(SALU_CYCLE_1)
	s_ashr_i32 s1, s0, 31
	s_lshl_b64 s[0:1], s[0:1], 2
	s_cmp_lt_u32 s10, 8
	s_add_nc_u64 s[0:1], s[4:5], s[0:1]
	s_cbranch_scc1 .LBB28_27
; %bb.23:
	v_mov_b32_e32 v2, 0
	v_or_b32_e32 v1, 0x380, v0
	s_and_b32 s2, s10, 0x7ffffff8
	s_mov_b32 s4, 0
	s_mov_b32 s5, 0
	v_mov_b32_e32 v3, v2
.LBB28_24:                              ; =>This Inner Loop Header: Depth=1
	v_add_nc_u32_e32 v4, 0xfffffc80, v1
	v_dual_mov_b32 v16, s5 :: v_dual_add_nc_u32 v5, 0xfffffd00, v1
	s_clause 0x1
	global_load_b32 v21, v4, s[0:1] scale_offset
	global_load_b32 v23, v5, s[0:1] scale_offset
	s_wait_xcnt 0x1
	v_add_nc_u32_e32 v4, 0xfffffd80, v1
	s_wait_xcnt 0x0
	v_add_nc_u32_e32 v5, 0xfffffe00, v1
	s_clause 0x1
	global_load_b32 v25, v4, s[0:1] scale_offset
	global_load_b32 v27, v5, s[0:1] scale_offset
	s_wait_xcnt 0x1
	v_add_nc_u32_e32 v4, 0xfffffe80, v1
	s_wait_xcnt 0x0
	v_add_nc_u32_e32 v5, 0xffffff00, v1
	global_load_b32 v29, v4, s[0:1] scale_offset
	s_wait_xcnt 0x0
	v_add_nc_u32_e32 v4, 0xffffff80, v1
	s_clause 0x2
	global_load_b32 v31, v5, s[0:1] scale_offset
	global_load_b32 v33, v4, s[0:1] scale_offset
	;; [unrolled: 1-line block ×3, first 2 shown]
	s_wait_xcnt 0x1
	ds_load_2addr_b64 v[4:7], v16 offset1:1
	ds_load_2addr_b64 v[8:11], v16 offset0:2 offset1:3
	ds_load_2addr_b64 v[12:15], v16 offset0:4 offset1:5
	;; [unrolled: 1-line block ×3, first 2 shown]
	s_wait_xcnt 0x0
	v_add_nc_u32_e32 v1, 0x400, v1
	s_wait_dscnt 0x3
	v_readfirstlane_b32 s6, v4
	v_readfirstlane_b32 s7, v6
	s_wait_dscnt 0x2
	v_readfirstlane_b32 s12, v8
	v_dual_mov_b32 v20, v5 :: v_dual_mov_b32 v26, v11
	s_sub_f32 s6, s6, s3
	s_sub_f32 s7, s7, s3
	;; [unrolled: 1-line block ×3, first 2 shown]
	v_readfirstlane_b32 s13, v10
	s_mul_f32 s18, s6, 0x3fb8aa3b
	s_mul_f32 s19, s7, 0x3fb8aa3b
	s_mul_f32 s20, s12, 0x3fb8aa3b
	s_wait_dscnt 0x1
	v_readfirstlane_b32 s14, v12
	s_xor_b32 s26, s18, 0x80000000
	s_rndne_f32 s27, s18
	s_fmamk_f32 s26, s6, 0x3fb8aa3b, s26
	s_cmp_nlt_f32 s6, 0xc2ce8ed0
	s_rndne_f32 s28, s19
	s_sub_f32 s18, s18, s27
	s_fmamk_f32 s26, s6, 0x32a5705f, s26
	s_cvt_i32_f32 s27, s27
	s_cselect_b32 vcc_lo, -1, 0
	s_cmp_ngt_f32 s6, 0x42b17218
	s_add_f32 s18, s18, s26
	s_sub_f32 s36, s19, s28
	s_cvt_i32_f32 s28, s28
	s_rndne_f32 s29, s20
	v_s_exp_f32 s18, s18
	s_sub_f32 s13, s13, s3
	s_sub_f32 s14, s14, s3
	;; [unrolled: 1-line block ×3, first 2 shown]
	s_cvt_i32_f32 s29, s29
	s_mul_f32 s21, s13, 0x3fb8aa3b
	s_mul_f32 s22, s14, 0x3fb8aa3b
	v_readfirstlane_b32 s15, v14
	v_ldexp_f32 v4, s18, s27
	s_wait_dscnt 0x0
	v_mov_b32_e32 v32, v17
	s_rndne_f32 s30, s21
	s_rndne_f32 s31, s22
	s_sub_f32 s15, s15, s3
	v_cndmask_b32_e32 v4, 0, v4, vcc_lo
	s_cselect_b32 vcc_lo, -1, 0
	s_xor_b32 s6, s19, 0x80000000
	s_cmp_nlt_f32 s7, 0xc2ce8ed0
	s_fmamk_f32 s6, s7, 0x3fb8aa3b, s6
	v_cndmask_b32_e32 v4, 0x7f800000, v4, vcc_lo
	s_sub_f32 s38, s21, s30
	s_cselect_b32 vcc_lo, -1, 0
	s_fmamk_f32 s6, s7, 0x32a5705f, s6
	s_cmp_ngt_f32 s7, 0x42b17218
	s_cvt_i32_f32 s30, s30
	s_sub_f32 s39, s22, s31
	s_add_f32 s6, s36, s6
	s_cvt_i32_f32 s31, s31
	s_mul_f32 s23, s15, 0x3fb8aa3b
	v_readfirstlane_b32 s16, v16
	v_s_exp_f32 s6, s6
	v_readfirstlane_b32 s17, v18
	s_rndne_f32 s33, s23
	v_mov_b32_e32 v22, v7
	s_sub_f32 s16, s16, s3
	v_mov_b32_e32 v34, v19
	s_sub_f32 s40, s23, s33
	s_cvt_i32_f32 s33, s33
	v_ldexp_f32 v5, s6, s28
	s_mul_f32 s24, s16, 0x3fb8aa3b
	s_sub_f32 s17, s17, s3
	v_dual_mov_b32 v24, v9 :: v_dual_mov_b32 v28, v13
	s_delay_alu instid0(VALU_DEP_2)
	v_dual_mov_b32 v30, v15 :: v_dual_cndmask_b32 v5, 0, v5
	s_cselect_b32 vcc_lo, -1, 0
	s_xor_b32 s6, s20, 0x80000000
	s_cmp_nlt_f32 s12, 0xc2ce8ed0
	s_fmamk_f32 s6, s12, 0x3fb8aa3b, s6
	v_cndmask_b32_e32 v6, 0x7f800000, v5, vcc_lo
	s_rndne_f32 s34, s24
	s_cselect_b32 vcc_lo, -1, 0
	s_fmamk_f32 s6, s12, 0x32a5705f, s6
	s_cmp_ngt_f32 s12, 0x42b17218
	s_sub_f32 s41, s24, s34
	s_cvt_i32_f32 s34, s34
	s_add_f32 s6, s37, s6
	s_mul_f32 s25, s17, 0x3fb8aa3b
	s_delay_alu instid0(SALU_CYCLE_2) | instskip(NEXT) | instid1(SALU_CYCLE_2)
	v_s_exp_f32 s6, s6
	s_rndne_f32 s35, s25
	s_delay_alu instid0(SALU_CYCLE_3) | instskip(SKIP_2) | instid1(TRANS32_DEP_1)
	s_sub_f32 s42, s25, s35
	s_cvt_i32_f32 s35, s35
	v_nop
	v_ldexp_f32 v5, s6, s29
	s_delay_alu instid0(VALU_DEP_1)
	v_cndmask_b32_e32 v5, 0, v5, vcc_lo
	s_cselect_b32 vcc_lo, -1, 0
	s_xor_b32 s6, s21, 0x80000000
	s_cmp_nlt_f32 s13, 0xc2ce8ed0
	s_fmamk_f32 s6, s13, 0x3fb8aa3b, s6
	v_cndmask_b32_e32 v8, 0x7f800000, v5, vcc_lo
	s_cselect_b32 vcc_lo, -1, 0
	s_delay_alu instid0(SALU_CYCLE_1) | instskip(SKIP_1) | instid1(SALU_CYCLE_2)
	s_fmamk_f32 s6, s13, 0x32a5705f, s6
	s_cmp_ngt_f32 s13, 0x42b17218
	s_add_f32 s6, s38, s6
	s_delay_alu instid0(SALU_CYCLE_3) | instskip(SKIP_1) | instid1(TRANS32_DEP_1)
	v_s_exp_f32 s6, s6
	v_nop
	v_ldexp_f32 v5, s6, s30
	s_delay_alu instid0(VALU_DEP_1)
	v_cndmask_b32_e32 v5, 0, v5, vcc_lo
	s_cselect_b32 vcc_lo, -1, 0
	s_xor_b32 s6, s22, 0x80000000
	s_cmp_nlt_f32 s14, 0xc2ce8ed0
	s_fmamk_f32 s6, s14, 0x3fb8aa3b, s6
	v_cndmask_b32_e32 v10, 0x7f800000, v5, vcc_lo
	s_cselect_b32 vcc_lo, -1, 0
	s_delay_alu instid0(SALU_CYCLE_1) | instskip(SKIP_1) | instid1(SALU_CYCLE_2)
	s_fmamk_f32 s6, s14, 0x32a5705f, s6
	s_cmp_ngt_f32 s14, 0x42b17218
	s_add_f32 s6, s39, s6
	s_delay_alu instid0(SALU_CYCLE_3) | instskip(SKIP_1) | instid1(TRANS32_DEP_1)
	v_s_exp_f32 s6, s6
	;; [unrolled: 16-line block ×4, first 2 shown]
	v_nop
	v_ldexp_f32 v5, s6, s34
	s_delay_alu instid0(VALU_DEP_1) | instskip(SKIP_4) | instid1(SALU_CYCLE_3)
	v_cndmask_b32_e32 v5, 0, v5, vcc_lo
	s_cselect_b32 vcc_lo, -1, 0
	s_xor_b32 s6, s25, 0x80000000
	s_cmp_nlt_f32 s17, 0xc2ce8ed0
	s_fmamk_f32 s6, s17, 0x3fb8aa3b, s6
	s_fmamk_f32 s6, s17, 0x32a5705f, s6
	s_delay_alu instid0(SALU_CYCLE_3) | instskip(NEXT) | instid1(SALU_CYCLE_3)
	s_add_f32 s6, s42, s6
	v_s_exp_f32 s6, s6
	s_wait_loadcnt 0x7
	v_pk_fma_f32 v[2:3], v[4:5], v[20:21], v[2:3] op_sel_hi:[0,1,1]
	v_cndmask_b32_e32 v4, 0x7f800000, v5, vcc_lo
	s_delay_alu instid0(TRANS32_DEP_1)
	v_ldexp_f32 v5, s6, s35
	s_cselect_b32 vcc_lo, -1, 0
	s_cmp_ngt_f32 s17, 0x42b17218
	s_wait_loadcnt 0x6
	v_pk_fma_f32 v[2:3], v[6:7], v[22:23], v[2:3] op_sel_hi:[0,1,1]
	v_cndmask_b32_e32 v5, 0, v5, vcc_lo
	s_cselect_b32 vcc_lo, -1, 0
	s_add_co_i32 s4, s4, 8
	s_wait_loadcnt 0x5
	v_pk_fma_f32 v[2:3], v[8:9], v[24:25], v[2:3] op_sel_hi:[0,1,1]
	s_add_co_i32 s5, s5, 64
	v_cndmask_b32_e32 v6, 0x7f800000, v5, vcc_lo
	s_cmp_eq_u32 s2, s4
	s_wait_loadcnt 0x4
	v_pk_fma_f32 v[2:3], v[10:11], v[26:27], v[2:3] op_sel_hi:[0,1,1]
	s_wait_loadcnt 0x3
	s_delay_alu instid0(VALU_DEP_1) | instskip(SKIP_1) | instid1(VALU_DEP_1)
	v_pk_fma_f32 v[2:3], v[12:13], v[28:29], v[2:3] op_sel_hi:[0,1,1]
	s_wait_loadcnt 0x2
	v_pk_fma_f32 v[2:3], v[14:15], v[30:31], v[2:3] op_sel_hi:[0,1,1]
	s_wait_loadcnt 0x1
	s_delay_alu instid0(VALU_DEP_1) | instskip(SKIP_1) | instid1(VALU_DEP_1)
	v_pk_fma_f32 v[2:3], v[4:5], v[32:33], v[2:3] op_sel_hi:[0,1,1]
	s_wait_loadcnt 0x0
	v_pk_fma_f32 v[2:3], v[6:7], v[34:35], v[2:3] op_sel_hi:[0,1,1]
	s_cbranch_scc0 .LBB28_24
; %bb.25:
	s_and_b32 s4, s10, 7
	s_delay_alu instid0(SALU_CYCLE_1)
	s_cmp_eq_u32 s4, 0
	s_cbranch_scc0 .LBB28_28
	s_branch .LBB28_30
.LBB28_26:
	v_mov_b32_e32 v1, 0x7fc00000
	s_branch .LBB28_31
.LBB28_27:
	v_mov_b64_e32 v[2:3], 0
	s_mov_b32 s2, 0
	s_and_b32 s4, s10, 7
	s_delay_alu instid0(SALU_CYCLE_1)
	s_cmp_eq_u32 s4, 0
	s_cbranch_scc1 .LBB28_30
.LBB28_28:
	v_lshl_or_b32 v1, s2, 7, v0
	s_lshl_b32 s2, s2, 3
	s_delay_alu instid0(SALU_CYCLE_1)
	s_add_co_i32 s2, s2, 0
.LBB28_29:                              ; =>This Inner Loop Header: Depth=1
	global_load_b32 v5, v1, s[0:1] scale_offset
	s_wait_xcnt 0x0
	v_dual_mov_b32 v4, s2 :: v_dual_add_nc_u32 v1, 0x80, v1
	ds_load_b64 v[6:7], v4
	s_wait_dscnt 0x0
	v_readfirstlane_b32 s5, v6
	s_sub_f32 s5, s5, s3
	s_delay_alu instid0(SALU_CYCLE_3) | instskip(NEXT) | instid1(SALU_CYCLE_3)
	s_mul_f32 s6, s5, 0x3fb8aa3b
	s_xor_b32 s7, s6, 0x80000000
	s_rndne_f32 s10, s6
	s_fmamk_f32 s7, s5, 0x3fb8aa3b, s7
	s_cmp_nlt_f32 s5, 0xc2ce8ed0
	s_delay_alu instid0(SALU_CYCLE_1) | instskip(NEXT) | instid1(SALU_CYCLE_1)
	s_sub_f32 s6, s6, s10
	s_fmamk_f32 s7, s5, 0x32a5705f, s7
	s_cselect_b32 vcc_lo, -1, 0
	s_cmp_ngt_f32 s5, 0x42b17218
	s_delay_alu instid0(SALU_CYCLE_1) | instskip(SKIP_1) | instid1(SALU_CYCLE_2)
	s_add_f32 s6, s6, s7
	s_cvt_i32_f32 s7, s10
	v_s_exp_f32 s6, s6
	v_nop
	s_delay_alu instid0(TRANS32_DEP_1) | instid1(SALU_CYCLE_1)
	v_ldexp_f32 v4, s6, s7
	s_delay_alu instid0(VALU_DEP_1) | instskip(SKIP_3) | instid1(VALU_DEP_1)
	v_dual_cndmask_b32 v6, 0, v4, vcc_lo :: v_dual_mov_b32 v4, v7
	s_cselect_b32 vcc_lo, -1, 0
	s_add_co_i32 s4, s4, -1
	s_add_co_i32 s2, s2, 8
	v_cndmask_b32_e32 v6, 0x7f800000, v6, vcc_lo
	s_cmp_lg_u32 s4, 0
	s_wait_loadcnt 0x0
	s_delay_alu instid0(VALU_DEP_1)
	v_pk_fma_f32 v[2:3], v[6:7], v[4:5], v[2:3] op_sel_hi:[0,1,1]
	s_cbranch_scc1 .LBB28_29
.LBB28_30:
	s_delay_alu instid0(VALU_DEP_1) | instskip(NEXT) | instid1(VALU_DEP_1)
	v_div_scale_f32 v1, null, v2, v2, v3
	v_rcp_f32_e32 v4, v1
	v_nop
	s_delay_alu instid0(TRANS32_DEP_1) | instskip(NEXT) | instid1(VALU_DEP_1)
	v_fma_f32 v5, -v1, v4, 1.0
	v_fmac_f32_e32 v4, v5, v4
	v_div_scale_f32 v5, vcc_lo, v3, v2, v3
	s_delay_alu instid0(VALU_DEP_1) | instskip(NEXT) | instid1(VALU_DEP_1)
	v_mul_f32_e32 v6, v5, v4
	v_fma_f32 v7, -v1, v6, v5
	s_delay_alu instid0(VALU_DEP_1) | instskip(NEXT) | instid1(VALU_DEP_1)
	v_fmac_f32_e32 v6, v7, v4
	v_fma_f32 v1, -v1, v6, v5
	s_delay_alu instid0(VALU_DEP_1) | instskip(NEXT) | instid1(VALU_DEP_1)
	v_div_fmas_f32 v1, v1, v4, v6
	v_div_fixup_f32 v1, v1, v2, v3
.LBB28_31:
	s_lshl_b32 s0, s11, 7
	s_delay_alu instid0(SALU_CYCLE_1) | instskip(NEXT) | instid1(SALU_CYCLE_1)
	s_ashr_i32 s1, s0, 31
	s_lshl_b64 s[0:1], s[0:1], 2
	s_delay_alu instid0(SALU_CYCLE_1)
	s_add_nc_u64 s[0:1], s[8:9], s[0:1]
	global_store_b32 v0, v1, s[0:1] scale_offset
	s_endpgm
	.section	.rodata,"a",@progbits
	.p2align	6, 0x0
	.amdhsa_kernel _ZL26flash_attn_combine_resultsILi128EEvPKfPK15HIP_vector_typeIfLj2EEPfi
		.amdhsa_group_segment_fixed_size 0
		.amdhsa_private_segment_fixed_size 0
		.amdhsa_kernarg_size 288
		.amdhsa_user_sgpr_count 2
		.amdhsa_user_sgpr_dispatch_ptr 0
		.amdhsa_user_sgpr_queue_ptr 0
		.amdhsa_user_sgpr_kernarg_segment_ptr 1
		.amdhsa_user_sgpr_dispatch_id 0
		.amdhsa_user_sgpr_kernarg_preload_length 0
		.amdhsa_user_sgpr_kernarg_preload_offset 0
		.amdhsa_user_sgpr_private_segment_size 0
		.amdhsa_wavefront_size32 1
		.amdhsa_uses_dynamic_stack 0
		.amdhsa_enable_private_segment 0
		.amdhsa_system_sgpr_workgroup_id_x 1
		.amdhsa_system_sgpr_workgroup_id_y 1
		.amdhsa_system_sgpr_workgroup_id_z 1
		.amdhsa_system_sgpr_workgroup_info 0
		.amdhsa_system_vgpr_workitem_id 0
		.amdhsa_next_free_vgpr 36
		.amdhsa_next_free_sgpr 43
		.amdhsa_named_barrier_count 0
		.amdhsa_reserve_vcc 1
		.amdhsa_float_round_mode_32 0
		.amdhsa_float_round_mode_16_64 0
		.amdhsa_float_denorm_mode_32 3
		.amdhsa_float_denorm_mode_16_64 3
		.amdhsa_fp16_overflow 0
		.amdhsa_memory_ordered 1
		.amdhsa_forward_progress 1
		.amdhsa_inst_pref_size 29
		.amdhsa_round_robin_scheduling 0
		.amdhsa_exception_fp_ieee_invalid_op 0
		.amdhsa_exception_fp_denorm_src 0
		.amdhsa_exception_fp_ieee_div_zero 0
		.amdhsa_exception_fp_ieee_overflow 0
		.amdhsa_exception_fp_ieee_underflow 0
		.amdhsa_exception_fp_ieee_inexact 0
		.amdhsa_exception_int_div_zero 0
	.end_amdhsa_kernel
	.section	.text._ZL26flash_attn_combine_resultsILi128EEvPKfPK15HIP_vector_typeIfLj2EEPfi,"axG",@progbits,_ZL26flash_attn_combine_resultsILi128EEvPKfPK15HIP_vector_typeIfLj2EEPfi,comdat
.Lfunc_end28:
	.size	_ZL26flash_attn_combine_resultsILi128EEvPKfPK15HIP_vector_typeIfLj2EEPfi, .Lfunc_end28-_ZL26flash_attn_combine_resultsILi128EEvPKfPK15HIP_vector_typeIfLj2EEPfi
                                        ; -- End function
	.set _ZL26flash_attn_combine_resultsILi128EEvPKfPK15HIP_vector_typeIfLj2EEPfi.num_vgpr, 36
	.set _ZL26flash_attn_combine_resultsILi128EEvPKfPK15HIP_vector_typeIfLj2EEPfi.num_agpr, 0
	.set _ZL26flash_attn_combine_resultsILi128EEvPKfPK15HIP_vector_typeIfLj2EEPfi.numbered_sgpr, 43
	.set _ZL26flash_attn_combine_resultsILi128EEvPKfPK15HIP_vector_typeIfLj2EEPfi.num_named_barrier, 0
	.set _ZL26flash_attn_combine_resultsILi128EEvPKfPK15HIP_vector_typeIfLj2EEPfi.private_seg_size, 0
	.set _ZL26flash_attn_combine_resultsILi128EEvPKfPK15HIP_vector_typeIfLj2EEPfi.uses_vcc, 1
	.set _ZL26flash_attn_combine_resultsILi128EEvPKfPK15HIP_vector_typeIfLj2EEPfi.uses_flat_scratch, 0
	.set _ZL26flash_attn_combine_resultsILi128EEvPKfPK15HIP_vector_typeIfLj2EEPfi.has_dyn_sized_stack, 0
	.set _ZL26flash_attn_combine_resultsILi128EEvPKfPK15HIP_vector_typeIfLj2EEPfi.has_recursion, 0
	.set _ZL26flash_attn_combine_resultsILi128EEvPKfPK15HIP_vector_typeIfLj2EEPfi.has_indirect_call, 0
	.section	.AMDGPU.csdata,"",@progbits
; Kernel info:
; codeLenInByte = 3596
; TotalNumSgprs: 45
; NumVgprs: 36
; ScratchSize: 0
; MemoryBound: 0
; FloatMode: 240
; IeeeMode: 1
; LDSByteSize: 0 bytes/workgroup (compile time only)
; SGPRBlocks: 0
; VGPRBlocks: 2
; NumSGPRsForWavesPerEU: 45
; NumVGPRsForWavesPerEU: 36
; NamedBarCnt: 0
; Occupancy: 16
; WaveLimiterHint : 0
; COMPUTE_PGM_RSRC2:SCRATCH_EN: 0
; COMPUTE_PGM_RSRC2:USER_SGPR: 2
; COMPUTE_PGM_RSRC2:TRAP_HANDLER: 0
; COMPUTE_PGM_RSRC2:TGID_X_EN: 1
; COMPUTE_PGM_RSRC2:TGID_Y_EN: 1
; COMPUTE_PGM_RSRC2:TGID_Z_EN: 1
; COMPUTE_PGM_RSRC2:TIDIG_COMP_CNT: 0
	.section	.text._ZL18flash_attn_ext_f16ILi256ELi256ELi32ELi1ELb0ELb0EEvPKcS1_S1_S1_S1_PKiPfP15HIP_vector_typeIfLj2EEffffjfiS5_IjLj3EEiiiiiiiiiiiliiliiiiil,"axG",@progbits,_ZL18flash_attn_ext_f16ILi256ELi256ELi32ELi1ELb0ELb0EEvPKcS1_S1_S1_S1_PKiPfP15HIP_vector_typeIfLj2EEffffjfiS5_IjLj3EEiiiiiiiiiiiliiliiiiil,comdat
	.globl	_ZL18flash_attn_ext_f16ILi256ELi256ELi32ELi1ELb0ELb0EEvPKcS1_S1_S1_S1_PKiPfP15HIP_vector_typeIfLj2EEffffjfiS5_IjLj3EEiiiiiiiiiiiliiliiiiil ; -- Begin function _ZL18flash_attn_ext_f16ILi256ELi256ELi32ELi1ELb0ELb0EEvPKcS1_S1_S1_S1_PKiPfP15HIP_vector_typeIfLj2EEffffjfiS5_IjLj3EEiiiiiiiiiiiliiliiiiil
	.p2align	8
	.type	_ZL18flash_attn_ext_f16ILi256ELi256ELi32ELi1ELb0ELb0EEvPKcS1_S1_S1_S1_PKiPfP15HIP_vector_typeIfLj2EEffffjfiS5_IjLj3EEiiiiiiiiiiiliiliiiiil,@function
_ZL18flash_attn_ext_f16ILi256ELi256ELi32ELi1ELb0ELb0EEvPKcS1_S1_S1_S1_PKiPfP15HIP_vector_typeIfLj2EEffffjfiS5_IjLj3EEiiiiiiiiiiiliiliiiiil: ; @_ZL18flash_attn_ext_f16ILi256ELi256ELi32ELi1ELb0ELb0EEvPKcS1_S1_S1_S1_PKiPfP15HIP_vector_typeIfLj2EEffffjfiS5_IjLj3EEiiiiiiiiiiiliiliiiiil
; %bb.0:
	v_mov_b32_e32 v0, 0x6e3
	s_add_nc_u64 s[8:9], s[0:1], 0xd0
	s_get_pc_i64 s[0:1]
	s_add_nc_u64 s[0:1], s[0:1], _ZL14no_device_codePKciS0_iS0_@rel64+4
	s_mov_b32 s32, 0
	s_swap_pc_i64 s[30:31], s[0:1]
	.section	.rodata,"a",@progbits
	.p2align	6, 0x0
	.amdhsa_kernel _ZL18flash_attn_ext_f16ILi256ELi256ELi32ELi1ELb0ELb0EEvPKcS1_S1_S1_S1_PKiPfP15HIP_vector_typeIfLj2EEffffjfiS5_IjLj3EEiiiiiiiiiiiliiliiiiil
		.amdhsa_group_segment_fixed_size 0
		.amdhsa_private_segment_fixed_size 16
		.amdhsa_kernarg_size 464
		.amdhsa_user_sgpr_count 2
		.amdhsa_user_sgpr_dispatch_ptr 0
		.amdhsa_user_sgpr_queue_ptr 0
		.amdhsa_user_sgpr_kernarg_segment_ptr 1
		.amdhsa_user_sgpr_dispatch_id 0
		.amdhsa_user_sgpr_kernarg_preload_length 0
		.amdhsa_user_sgpr_kernarg_preload_offset 0
		.amdhsa_user_sgpr_private_segment_size 0
		.amdhsa_wavefront_size32 1
		.amdhsa_uses_dynamic_stack 0
		.amdhsa_enable_private_segment 1
		.amdhsa_system_sgpr_workgroup_id_x 1
		.amdhsa_system_sgpr_workgroup_id_y 0
		.amdhsa_system_sgpr_workgroup_id_z 0
		.amdhsa_system_sgpr_workgroup_info 0
		.amdhsa_system_vgpr_workitem_id 0
		.amdhsa_next_free_vgpr 50
		.amdhsa_next_free_sgpr 34
		.amdhsa_named_barrier_count 0
		.amdhsa_reserve_vcc 1
		.amdhsa_float_round_mode_32 0
		.amdhsa_float_round_mode_16_64 0
		.amdhsa_float_denorm_mode_32 3
		.amdhsa_float_denorm_mode_16_64 3
		.amdhsa_fp16_overflow 0
		.amdhsa_memory_ordered 1
		.amdhsa_forward_progress 1
		.amdhsa_inst_pref_size 1
		.amdhsa_round_robin_scheduling 0
		.amdhsa_exception_fp_ieee_invalid_op 0
		.amdhsa_exception_fp_denorm_src 0
		.amdhsa_exception_fp_ieee_div_zero 0
		.amdhsa_exception_fp_ieee_overflow 0
		.amdhsa_exception_fp_ieee_underflow 0
		.amdhsa_exception_fp_ieee_inexact 0
		.amdhsa_exception_int_div_zero 0
	.end_amdhsa_kernel
	.section	.text._ZL18flash_attn_ext_f16ILi256ELi256ELi32ELi1ELb0ELb0EEvPKcS1_S1_S1_S1_PKiPfP15HIP_vector_typeIfLj2EEffffjfiS5_IjLj3EEiiiiiiiiiiiliiliiiiil,"axG",@progbits,_ZL18flash_attn_ext_f16ILi256ELi256ELi32ELi1ELb0ELb0EEvPKcS1_S1_S1_S1_PKiPfP15HIP_vector_typeIfLj2EEffffjfiS5_IjLj3EEiiiiiiiiiiiliiliiiiil,comdat
.Lfunc_end29:
	.size	_ZL18flash_attn_ext_f16ILi256ELi256ELi32ELi1ELb0ELb0EEvPKcS1_S1_S1_S1_PKiPfP15HIP_vector_typeIfLj2EEffffjfiS5_IjLj3EEiiiiiiiiiiiliiliiiiil, .Lfunc_end29-_ZL18flash_attn_ext_f16ILi256ELi256ELi32ELi1ELb0ELb0EEvPKcS1_S1_S1_S1_PKiPfP15HIP_vector_typeIfLj2EEffffjfiS5_IjLj3EEiiiiiiiiiiiliiliiiiil
                                        ; -- End function
	.set _ZL18flash_attn_ext_f16ILi256ELi256ELi32ELi1ELb0ELb0EEvPKcS1_S1_S1_S1_PKiPfP15HIP_vector_typeIfLj2EEffffjfiS5_IjLj3EEiiiiiiiiiiiliiliiiiil.num_vgpr, max(1, .L_ZL14no_device_codePKciS0_iS0_.num_vgpr)
	.set _ZL18flash_attn_ext_f16ILi256ELi256ELi32ELi1ELb0ELb0EEvPKcS1_S1_S1_S1_PKiPfP15HIP_vector_typeIfLj2EEffffjfiS5_IjLj3EEiiiiiiiiiiiliiliiiiil.num_agpr, max(0, .L_ZL14no_device_codePKciS0_iS0_.num_agpr)
	.set _ZL18flash_attn_ext_f16ILi256ELi256ELi32ELi1ELb0ELb0EEvPKcS1_S1_S1_S1_PKiPfP15HIP_vector_typeIfLj2EEffffjfiS5_IjLj3EEiiiiiiiiiiiliiliiiiil.numbered_sgpr, max(33, .L_ZL14no_device_codePKciS0_iS0_.numbered_sgpr)
	.set _ZL18flash_attn_ext_f16ILi256ELi256ELi32ELi1ELb0ELb0EEvPKcS1_S1_S1_S1_PKiPfP15HIP_vector_typeIfLj2EEffffjfiS5_IjLj3EEiiiiiiiiiiiliiliiiiil.num_named_barrier, max(0, .L_ZL14no_device_codePKciS0_iS0_.num_named_barrier)
	.set _ZL18flash_attn_ext_f16ILi256ELi256ELi32ELi1ELb0ELb0EEvPKcS1_S1_S1_S1_PKiPfP15HIP_vector_typeIfLj2EEffffjfiS5_IjLj3EEiiiiiiiiiiiliiliiiiil.private_seg_size, 0+max(.L_ZL14no_device_codePKciS0_iS0_.private_seg_size)
	.set _ZL18flash_attn_ext_f16ILi256ELi256ELi32ELi1ELb0ELb0EEvPKcS1_S1_S1_S1_PKiPfP15HIP_vector_typeIfLj2EEffffjfiS5_IjLj3EEiiiiiiiiiiiliiliiiiil.uses_vcc, or(1, .L_ZL14no_device_codePKciS0_iS0_.uses_vcc)
	.set _ZL18flash_attn_ext_f16ILi256ELi256ELi32ELi1ELb0ELb0EEvPKcS1_S1_S1_S1_PKiPfP15HIP_vector_typeIfLj2EEffffjfiS5_IjLj3EEiiiiiiiiiiiliiliiiiil.uses_flat_scratch, or(0, .L_ZL14no_device_codePKciS0_iS0_.uses_flat_scratch)
	.set _ZL18flash_attn_ext_f16ILi256ELi256ELi32ELi1ELb0ELb0EEvPKcS1_S1_S1_S1_PKiPfP15HIP_vector_typeIfLj2EEffffjfiS5_IjLj3EEiiiiiiiiiiiliiliiiiil.has_dyn_sized_stack, or(0, .L_ZL14no_device_codePKciS0_iS0_.has_dyn_sized_stack)
	.set _ZL18flash_attn_ext_f16ILi256ELi256ELi32ELi1ELb0ELb0EEvPKcS1_S1_S1_S1_PKiPfP15HIP_vector_typeIfLj2EEffffjfiS5_IjLj3EEiiiiiiiiiiiliiliiiiil.has_recursion, or(0, .L_ZL14no_device_codePKciS0_iS0_.has_recursion)
	.set _ZL18flash_attn_ext_f16ILi256ELi256ELi32ELi1ELb0ELb0EEvPKcS1_S1_S1_S1_PKiPfP15HIP_vector_typeIfLj2EEffffjfiS5_IjLj3EEiiiiiiiiiiiliiliiiiil.has_indirect_call, or(0, .L_ZL14no_device_codePKciS0_iS0_.has_indirect_call)
	.section	.AMDGPU.csdata,"",@progbits
; Kernel info:
; codeLenInByte = 40
; TotalNumSgprs: 36
; NumVgprs: 50
; ScratchSize: 16
; MemoryBound: 0
; FloatMode: 240
; IeeeMode: 1
; LDSByteSize: 0 bytes/workgroup (compile time only)
; SGPRBlocks: 0
; VGPRBlocks: 3
; NumSGPRsForWavesPerEU: 36
; NumVGPRsForWavesPerEU: 50
; NamedBarCnt: 0
; Occupancy: 16
; WaveLimiterHint : 1
; COMPUTE_PGM_RSRC2:SCRATCH_EN: 1
; COMPUTE_PGM_RSRC2:USER_SGPR: 2
; COMPUTE_PGM_RSRC2:TRAP_HANDLER: 0
; COMPUTE_PGM_RSRC2:TGID_X_EN: 1
; COMPUTE_PGM_RSRC2:TGID_Y_EN: 0
; COMPUTE_PGM_RSRC2:TGID_Z_EN: 0
; COMPUTE_PGM_RSRC2:TIDIG_COMP_CNT: 0
	.section	.text._ZL18flash_attn_ext_f16ILi256ELi256ELi32ELi1ELb1ELb0EEvPKcS1_S1_S1_S1_PKiPfP15HIP_vector_typeIfLj2EEffffjfiS5_IjLj3EEiiiiiiiiiiiliiliiiiil,"axG",@progbits,_ZL18flash_attn_ext_f16ILi256ELi256ELi32ELi1ELb1ELb0EEvPKcS1_S1_S1_S1_PKiPfP15HIP_vector_typeIfLj2EEffffjfiS5_IjLj3EEiiiiiiiiiiiliiliiiiil,comdat
	.globl	_ZL18flash_attn_ext_f16ILi256ELi256ELi32ELi1ELb1ELb0EEvPKcS1_S1_S1_S1_PKiPfP15HIP_vector_typeIfLj2EEffffjfiS5_IjLj3EEiiiiiiiiiiiliiliiiiil ; -- Begin function _ZL18flash_attn_ext_f16ILi256ELi256ELi32ELi1ELb1ELb0EEvPKcS1_S1_S1_S1_PKiPfP15HIP_vector_typeIfLj2EEffffjfiS5_IjLj3EEiiiiiiiiiiiliiliiiiil
	.p2align	8
	.type	_ZL18flash_attn_ext_f16ILi256ELi256ELi32ELi1ELb1ELb0EEvPKcS1_S1_S1_S1_PKiPfP15HIP_vector_typeIfLj2EEffffjfiS5_IjLj3EEiiiiiiiiiiiliiliiiiil,@function
_ZL18flash_attn_ext_f16ILi256ELi256ELi32ELi1ELb1ELb0EEvPKcS1_S1_S1_S1_PKiPfP15HIP_vector_typeIfLj2EEffffjfiS5_IjLj3EEiiiiiiiiiiiliiliiiiil: ; @_ZL18flash_attn_ext_f16ILi256ELi256ELi32ELi1ELb1ELb0EEvPKcS1_S1_S1_S1_PKiPfP15HIP_vector_typeIfLj2EEffffjfiS5_IjLj3EEiiiiiiiiiiiliiliiiiil
; %bb.0:
	v_mov_b32_e32 v0, 0x6e3
	s_add_nc_u64 s[8:9], s[0:1], 0xd0
	s_get_pc_i64 s[0:1]
	s_add_nc_u64 s[0:1], s[0:1], _ZL14no_device_codePKciS0_iS0_@rel64+4
	s_mov_b32 s32, 0
	s_swap_pc_i64 s[30:31], s[0:1]
	.section	.rodata,"a",@progbits
	.p2align	6, 0x0
	.amdhsa_kernel _ZL18flash_attn_ext_f16ILi256ELi256ELi32ELi1ELb1ELb0EEvPKcS1_S1_S1_S1_PKiPfP15HIP_vector_typeIfLj2EEffffjfiS5_IjLj3EEiiiiiiiiiiiliiliiiiil
		.amdhsa_group_segment_fixed_size 0
		.amdhsa_private_segment_fixed_size 16
		.amdhsa_kernarg_size 464
		.amdhsa_user_sgpr_count 2
		.amdhsa_user_sgpr_dispatch_ptr 0
		.amdhsa_user_sgpr_queue_ptr 0
		.amdhsa_user_sgpr_kernarg_segment_ptr 1
		.amdhsa_user_sgpr_dispatch_id 0
		.amdhsa_user_sgpr_kernarg_preload_length 0
		.amdhsa_user_sgpr_kernarg_preload_offset 0
		.amdhsa_user_sgpr_private_segment_size 0
		.amdhsa_wavefront_size32 1
		.amdhsa_uses_dynamic_stack 0
		.amdhsa_enable_private_segment 1
		.amdhsa_system_sgpr_workgroup_id_x 1
		.amdhsa_system_sgpr_workgroup_id_y 0
		.amdhsa_system_sgpr_workgroup_id_z 0
		.amdhsa_system_sgpr_workgroup_info 0
		.amdhsa_system_vgpr_workitem_id 0
		.amdhsa_next_free_vgpr 50
		.amdhsa_next_free_sgpr 34
		.amdhsa_named_barrier_count 0
		.amdhsa_reserve_vcc 1
		.amdhsa_float_round_mode_32 0
		.amdhsa_float_round_mode_16_64 0
		.amdhsa_float_denorm_mode_32 3
		.amdhsa_float_denorm_mode_16_64 3
		.amdhsa_fp16_overflow 0
		.amdhsa_memory_ordered 1
		.amdhsa_forward_progress 1
		.amdhsa_inst_pref_size 1
		.amdhsa_round_robin_scheduling 0
		.amdhsa_exception_fp_ieee_invalid_op 0
		.amdhsa_exception_fp_denorm_src 0
		.amdhsa_exception_fp_ieee_div_zero 0
		.amdhsa_exception_fp_ieee_overflow 0
		.amdhsa_exception_fp_ieee_underflow 0
		.amdhsa_exception_fp_ieee_inexact 0
		.amdhsa_exception_int_div_zero 0
	.end_amdhsa_kernel
	.section	.text._ZL18flash_attn_ext_f16ILi256ELi256ELi32ELi1ELb1ELb0EEvPKcS1_S1_S1_S1_PKiPfP15HIP_vector_typeIfLj2EEffffjfiS5_IjLj3EEiiiiiiiiiiiliiliiiiil,"axG",@progbits,_ZL18flash_attn_ext_f16ILi256ELi256ELi32ELi1ELb1ELb0EEvPKcS1_S1_S1_S1_PKiPfP15HIP_vector_typeIfLj2EEffffjfiS5_IjLj3EEiiiiiiiiiiiliiliiiiil,comdat
.Lfunc_end30:
	.size	_ZL18flash_attn_ext_f16ILi256ELi256ELi32ELi1ELb1ELb0EEvPKcS1_S1_S1_S1_PKiPfP15HIP_vector_typeIfLj2EEffffjfiS5_IjLj3EEiiiiiiiiiiiliiliiiiil, .Lfunc_end30-_ZL18flash_attn_ext_f16ILi256ELi256ELi32ELi1ELb1ELb0EEvPKcS1_S1_S1_S1_PKiPfP15HIP_vector_typeIfLj2EEffffjfiS5_IjLj3EEiiiiiiiiiiiliiliiiiil
                                        ; -- End function
	.set _ZL18flash_attn_ext_f16ILi256ELi256ELi32ELi1ELb1ELb0EEvPKcS1_S1_S1_S1_PKiPfP15HIP_vector_typeIfLj2EEffffjfiS5_IjLj3EEiiiiiiiiiiiliiliiiiil.num_vgpr, max(1, .L_ZL14no_device_codePKciS0_iS0_.num_vgpr)
	.set _ZL18flash_attn_ext_f16ILi256ELi256ELi32ELi1ELb1ELb0EEvPKcS1_S1_S1_S1_PKiPfP15HIP_vector_typeIfLj2EEffffjfiS5_IjLj3EEiiiiiiiiiiiliiliiiiil.num_agpr, max(0, .L_ZL14no_device_codePKciS0_iS0_.num_agpr)
	.set _ZL18flash_attn_ext_f16ILi256ELi256ELi32ELi1ELb1ELb0EEvPKcS1_S1_S1_S1_PKiPfP15HIP_vector_typeIfLj2EEffffjfiS5_IjLj3EEiiiiiiiiiiiliiliiiiil.numbered_sgpr, max(33, .L_ZL14no_device_codePKciS0_iS0_.numbered_sgpr)
	.set _ZL18flash_attn_ext_f16ILi256ELi256ELi32ELi1ELb1ELb0EEvPKcS1_S1_S1_S1_PKiPfP15HIP_vector_typeIfLj2EEffffjfiS5_IjLj3EEiiiiiiiiiiiliiliiiiil.num_named_barrier, max(0, .L_ZL14no_device_codePKciS0_iS0_.num_named_barrier)
	.set _ZL18flash_attn_ext_f16ILi256ELi256ELi32ELi1ELb1ELb0EEvPKcS1_S1_S1_S1_PKiPfP15HIP_vector_typeIfLj2EEffffjfiS5_IjLj3EEiiiiiiiiiiiliiliiiiil.private_seg_size, 0+max(.L_ZL14no_device_codePKciS0_iS0_.private_seg_size)
	.set _ZL18flash_attn_ext_f16ILi256ELi256ELi32ELi1ELb1ELb0EEvPKcS1_S1_S1_S1_PKiPfP15HIP_vector_typeIfLj2EEffffjfiS5_IjLj3EEiiiiiiiiiiiliiliiiiil.uses_vcc, or(1, .L_ZL14no_device_codePKciS0_iS0_.uses_vcc)
	.set _ZL18flash_attn_ext_f16ILi256ELi256ELi32ELi1ELb1ELb0EEvPKcS1_S1_S1_S1_PKiPfP15HIP_vector_typeIfLj2EEffffjfiS5_IjLj3EEiiiiiiiiiiiliiliiiiil.uses_flat_scratch, or(0, .L_ZL14no_device_codePKciS0_iS0_.uses_flat_scratch)
	.set _ZL18flash_attn_ext_f16ILi256ELi256ELi32ELi1ELb1ELb0EEvPKcS1_S1_S1_S1_PKiPfP15HIP_vector_typeIfLj2EEffffjfiS5_IjLj3EEiiiiiiiiiiiliiliiiiil.has_dyn_sized_stack, or(0, .L_ZL14no_device_codePKciS0_iS0_.has_dyn_sized_stack)
	.set _ZL18flash_attn_ext_f16ILi256ELi256ELi32ELi1ELb1ELb0EEvPKcS1_S1_S1_S1_PKiPfP15HIP_vector_typeIfLj2EEffffjfiS5_IjLj3EEiiiiiiiiiiiliiliiiiil.has_recursion, or(0, .L_ZL14no_device_codePKciS0_iS0_.has_recursion)
	.set _ZL18flash_attn_ext_f16ILi256ELi256ELi32ELi1ELb1ELb0EEvPKcS1_S1_S1_S1_PKiPfP15HIP_vector_typeIfLj2EEffffjfiS5_IjLj3EEiiiiiiiiiiiliiliiiiil.has_indirect_call, or(0, .L_ZL14no_device_codePKciS0_iS0_.has_indirect_call)
	.section	.AMDGPU.csdata,"",@progbits
; Kernel info:
; codeLenInByte = 40
; TotalNumSgprs: 36
; NumVgprs: 50
; ScratchSize: 16
; MemoryBound: 0
; FloatMode: 240
; IeeeMode: 1
; LDSByteSize: 0 bytes/workgroup (compile time only)
; SGPRBlocks: 0
; VGPRBlocks: 3
; NumSGPRsForWavesPerEU: 36
; NumVGPRsForWavesPerEU: 50
; NamedBarCnt: 0
; Occupancy: 16
; WaveLimiterHint : 1
; COMPUTE_PGM_RSRC2:SCRATCH_EN: 1
; COMPUTE_PGM_RSRC2:USER_SGPR: 2
; COMPUTE_PGM_RSRC2:TRAP_HANDLER: 0
; COMPUTE_PGM_RSRC2:TGID_X_EN: 1
; COMPUTE_PGM_RSRC2:TGID_Y_EN: 0
; COMPUTE_PGM_RSRC2:TGID_Z_EN: 0
; COMPUTE_PGM_RSRC2:TIDIG_COMP_CNT: 0
	.section	.text._ZL33flash_attn_stream_k_fixup_uniformILi256ELi32ELi1EEvPfPK15HIP_vector_typeIfLj2EEiiiiiiS1_IjLj3EES5_S5_,"axG",@progbits,_ZL33flash_attn_stream_k_fixup_uniformILi256ELi32ELi1EEvPfPK15HIP_vector_typeIfLj2EEiiiiiiS1_IjLj3EES5_S5_,comdat
	.globl	_ZL33flash_attn_stream_k_fixup_uniformILi256ELi32ELi1EEvPfPK15HIP_vector_typeIfLj2EEiiiiiiS1_IjLj3EES5_S5_ ; -- Begin function _ZL33flash_attn_stream_k_fixup_uniformILi256ELi32ELi1EEvPfPK15HIP_vector_typeIfLj2EEiiiiiiS1_IjLj3EES5_S5_
	.p2align	8
	.type	_ZL33flash_attn_stream_k_fixup_uniformILi256ELi32ELi1EEvPfPK15HIP_vector_typeIfLj2EEiiiiiiS1_IjLj3EES5_S5_,@function
_ZL33flash_attn_stream_k_fixup_uniformILi256ELi32ELi1EEvPfPK15HIP_vector_typeIfLj2EEiiiiiiS1_IjLj3EES5_S5_: ; @_ZL33flash_attn_stream_k_fixup_uniformILi256ELi32ELi1EEvPfPK15HIP_vector_typeIfLj2EEiiiiiiS1_IjLj3EES5_S5_
; %bb.0:
	s_load_b256 s[4:11], s[0:1], 0x1c
	s_bfe_u32 s2, ttmp6, 0x40014
	s_lshr_b32 s3, ttmp7, 16
	s_add_co_i32 s2, s2, 1
	s_bfe_u32 s13, ttmp6, 0x40010
	s_mul_i32 s2, s3, s2
	s_bfe_u32 s12, ttmp6, 0x40008
	s_and_b32 s14, ttmp7, 0xffff
	s_add_co_i32 s13, s13, 1
	s_bfe_u32 s15, ttmp6, 0x4000c
	s_add_co_i32 s2, s12, s2
	s_mul_i32 s12, s14, s13
	s_bfe_u32 s13, ttmp6, 0x40004
	s_add_co_i32 s15, s15, 1
	s_add_co_i32 s13, s13, s12
	s_and_b32 s12, ttmp6, 15
	s_mul_i32 s15, ttmp9, s15
	s_getreg_b32 s20, hwreg(HW_REG_IB_STS2, 6, 4)
	s_add_co_i32 s12, s12, s15
	s_load_b128 s[16:19], s[0:1], 0x3c
	s_cmp_eq_u32 s20, 0
	s_cselect_b32 s12, ttmp9, s12
	s_cselect_b32 s13, s14, s13
	s_wait_kmcnt 0x0
	s_mul_hi_u32 s7, s7, s12
	s_cselect_b32 s14, s3, s2
	s_add_co_i32 s2, s12, s7
	s_delay_alu instid0(SALU_CYCLE_1) | instskip(NEXT) | instid1(SALU_CYCLE_1)
	s_lshr_b32 s7, s2, s8
	s_mul_i32 s2, s7, s9
	s_delay_alu instid0(SALU_CYCLE_1) | instskip(NEXT) | instid1(SALU_CYCLE_1)
	s_sub_co_i32 s8, s12, s2
	s_mul_hi_u32 s2, s8, s10
	s_delay_alu instid0(SALU_CYCLE_1) | instskip(SKIP_2) | instid1(SALU_CYCLE_1)
	s_add_co_i32 s9, s8, s2
	s_load_b64 s[2:3], s[0:1], 0x10
	s_lshr_b32 s15, s9, s11
	s_mul_i32 s9, s15, s16
	s_delay_alu instid0(SALU_CYCLE_1) | instskip(NEXT) | instid1(SALU_CYCLE_1)
	s_sub_co_i32 s8, s8, s9
	s_mul_hi_u32 s9, s8, s17
	s_delay_alu instid0(SALU_CYCLE_1) | instskip(NEXT) | instid1(SALU_CYCLE_1)
	s_add_co_i32 s9, s8, s9
	s_lshr_b32 s16, s9, s18
	s_delay_alu instid0(SALU_CYCLE_1) | instskip(NEXT) | instid1(SALU_CYCLE_1)
	s_mul_i32 s9, s16, s19
	s_sub_co_i32 s17, s8, s9
	s_delay_alu instid0(SALU_CYCLE_1) | instskip(NEXT) | instid1(SALU_CYCLE_1)
	s_lshl_b32 s8, s17, 5
	s_add_co_i32 s8, s8, s13
	s_wait_kmcnt 0x0
	s_cmp_lt_i32 s8, s2
	s_cselect_b32 s8, -1, 0
	s_add_co_i32 s9, s16, s14
	s_delay_alu instid0(SALU_CYCLE_1) | instskip(SKIP_1) | instid1(SALU_CYCLE_1)
	s_cmp_lt_i32 s9, s5
	s_cselect_b32 s9, -1, 0
	s_and_b32 s8, s8, s9
	s_delay_alu instid0(SALU_CYCLE_1)
	s_and_not1_b32 vcc_lo, exec_lo, s8
	s_cbranch_vccnz .LBB31_6
; %bb.1:
	s_mul_i32 s2, s7, s2
	s_load_b128 s[8:11], s[0:1], 0x0
	s_wait_xcnt 0x0
	s_add_co_i32 s0, s2, s13
	s_mul_i32 s15, s15, s5
	s_mul_i32 s0, s0, s3
	;; [unrolled: 1-line block ×3, first 2 shown]
	s_add_co_i32 s0, s0, s14
	s_lshl_b32 s1, s1, 13
	s_add_co_i32 s0, s0, s15
	s_mul_i32 s7, s6, s12
	s_add_co_i32 s0, s0, s16
	s_add_co_i32 s5, s7, s6
	s_lshl_b32 s0, s0, 8
	s_add_co_i32 s13, s13, s14
	s_add_co_i32 s1, s1, s0
	s_lshl_b32 s0, s5, 5
	v_or_b32_e32 v4, s1, v0
	s_add_co_i32 s0, s13, s0
	s_add_co_i32 s2, s5, -2
	s_sub_co_i32 s0, s0, 32
	s_delay_alu instid0(SALU_CYCLE_1)
	s_ashr_i32 s1, s0, 31
	s_wait_kmcnt 0x0
	global_load_b32 v3, v4, s[8:9] scale_offset
	s_lshl_b64 s[0:1], s[0:1], 3
	v_ashrrev_i32_e32 v5, 31, v4
	s_add_nc_u64 s[0:1], s[10:11], s[0:1]
	s_cmp_lt_i32 s2, s7
	s_load_b32 s14, s[0:1], 0x4
	s_cbranch_scc1 .LBB31_4
; %bb.2:
	s_wait_xcnt 0x0
	s_load_b32 s0, s[0:1], 0x0
	s_add_co_i32 s12, s12, 1
	s_lshl_b32 s3, s13, 8
	s_wait_xcnt 0x0
	s_mul_i32 s1, s6, s12
	s_lshl_b32 s2, s4, 7
	s_lshl_b32 s6, s1, 13
	;; [unrolled: 1-line block ×3, first 2 shown]
	s_add_co_i32 s6, s3, s6
	s_ashr_i32 s3, s2, 31
	s_wait_kmcnt 0x0
	v_dual_mov_b32 v2, s14 :: v_dual_bitop2_b32 v0, s6, v0 bitop3:0x54
	s_add_co_i32 s1, s13, s1
	s_lshl_b32 s4, s4, 5
	s_lshl_b64 s[2:3], s[2:3], 2
	s_delay_alu instid0(VALU_DEP_1)
	v_add_nc_u32_e32 v0, 0xffffc000, v0
	s_add_co_i32 s4, s1, s4
	s_add_nc_u64 s[2:3], s[10:11], s[2:3]
	s_add_co_i32 s1, s5, -1
	s_sub_co_i32 s4, s4, 64
.LBB31_3:                               ; =>This Inner Loop Header: Depth=1
	global_load_b32 v7, v0, s[2:3] scale_offset
	s_ashr_i32 s5, s4, 31
	v_max_num_f32_e64 v1, s0, s0
	s_lshl_b64 s[12:13], s[4:5], 3
	s_delay_alu instid0(SALU_CYCLE_1) | instskip(SKIP_1) | instid1(VALU_DEP_1)
	s_add_nc_u64 s[12:13], s[10:11], s[12:13]
	s_load_b64 s[12:13], s[12:13], 0x0
	v_readfirstlane_b32 s5, v1
	v_add_nc_u32_e32 v0, 0xffffe000, v0
	s_wait_kmcnt 0x0
	v_max_num_f32_e64 v1, s12, s12
	s_delay_alu instid0(VALU_DEP_1) | instskip(SKIP_1) | instid1(SALU_CYCLE_3)
	v_readfirstlane_b32 s6, v1
	s_max_num_f32 s5, s5, s6
	s_sub_f32 s0, s0, s5
	s_sub_f32 s6, s12, s5
	s_delay_alu instid0(SALU_CYCLE_2) | instskip(NEXT) | instid1(SALU_CYCLE_2)
	s_mul_f32 s12, s0, 0x3fb8aa3b
	s_mul_f32 s14, s6, 0x3fb8aa3b
	s_delay_alu instid0(SALU_CYCLE_2)
	s_xor_b32 s15, s12, 0x80000000
	s_rndne_f32 s16, s12
	s_fmamk_f32 s15, s0, 0x3fb8aa3b, s15
	s_cmp_nlt_f32 s0, 0xc2ce8ed0
	s_rndne_f32 s17, s14
	s_sub_f32 s12, s12, s16
	s_fmamk_f32 s15, s0, 0x32a5705f, s15
	s_cselect_b32 vcc_lo, -1, 0
	s_cmp_ngt_f32 s0, 0x42b17218
	s_delay_alu instid0(SALU_CYCLE_1) | instskip(SKIP_2) | instid1(SALU_CYCLE_1)
	s_add_f32 s12, s12, s15
	s_cvt_i32_f32 s15, s16
	s_sub_f32 s16, s14, s17
	v_s_exp_f32 s12, s12
	v_nop
	s_delay_alu instid0(TRANS32_DEP_1) | instskip(SKIP_1) | instid1(VALU_DEP_1)
	v_ldexp_f32 v1, s12, s15
	s_cvt_i32_f32 s12, s17
	v_cndmask_b32_e32 v1, 0, v1, vcc_lo
	s_cselect_b32 vcc_lo, -1, 0
	s_cmp_ge_f32 s0, 0xc1a00000
	s_delay_alu instid0(VALU_DEP_1)
	v_cndmask_b32_e32 v1, 0x7f800000, v1, vcc_lo
	s_cselect_b32 vcc_lo, -1, 0
	s_xor_b32 s0, s14, 0x80000000
	s_cmp_nlt_f32 s6, 0xc2ce8ed0
	s_fmamk_f32 s0, s6, 0x3fb8aa3b, s0
	v_cndmask_b32_e32 v10, 0, v1, vcc_lo
	s_delay_alu instid0(SALU_CYCLE_2) | instskip(NEXT) | instid1(SALU_CYCLE_3)
	s_fmamk_f32 s0, s6, 0x32a5705f, s0
	s_add_f32 s0, s16, s0
	s_delay_alu instid0(SALU_CYCLE_3) | instskip(SKIP_1) | instid1(TRANS32_DEP_1)
	v_s_exp_f32 s0, s0
	v_nop
	v_ldexp_f32 v6, s0, s12
	s_cselect_b32 s0, -1, 0
	s_cmp_ngt_f32 s6, 0x42b17218
	s_delay_alu instid0(VALU_DEP_1) | instskip(SKIP_2) | instid1(VALU_DEP_1)
	v_cndmask_b32_e64 v6, 0, v6, s0
	s_cselect_b32 s0, -1, 0
	s_cmp_ge_f32 s6, 0xc1a00000
	v_cndmask_b32_e64 v8, 0x7f800000, v6, s0
	s_cselect_b32 s0, -1, 0
	v_mov_b32_e32 v6, s13
	s_add_co_i32 s1, s1, -1
	s_sub_co_i32 s4, s4, 32
	v_cndmask_b32_e64 v8, 0, v8, s0
	s_cmp_le_i32 s1, s7
	s_mov_b32 s0, s5
	s_wait_loadcnt 0x0
	s_delay_alu instid0(VALU_DEP_1) | instskip(NEXT) | instid1(VALU_DEP_1)
	v_pk_mul_f32 v[6:7], v[6:7], v[8:9] op_sel_hi:[1,0]
	v_pk_fma_f32 v[2:3], v[2:3], v[10:11], v[6:7] op_sel_hi:[1,0,1]
	s_cbranch_scc0 .LBB31_3
	s_branch .LBB31_5
.LBB31_4:
	s_wait_kmcnt 0x0
	v_mov_b32_e32 v2, s14
.LBB31_5:
	v_lshl_add_u64 v[0:1], v[4:5], 2, s[8:9]
	s_wait_loadcnt 0x0
	s_delay_alu instid0(VALU_DEP_2) | instskip(NEXT) | instid1(VALU_DEP_1)
	v_div_scale_f32 v4, null, v2, v2, v3
	v_rcp_f32_e32 v5, v4
	v_nop
	s_delay_alu instid0(TRANS32_DEP_1) | instskip(NEXT) | instid1(VALU_DEP_1)
	v_fma_f32 v6, -v4, v5, 1.0
	v_fmac_f32_e32 v5, v6, v5
	v_div_scale_f32 v6, vcc_lo, v3, v2, v3
	s_delay_alu instid0(VALU_DEP_1) | instskip(NEXT) | instid1(VALU_DEP_1)
	v_mul_f32_e32 v7, v6, v5
	v_fma_f32 v8, -v4, v7, v6
	s_delay_alu instid0(VALU_DEP_1) | instskip(NEXT) | instid1(VALU_DEP_1)
	v_fmac_f32_e32 v7, v8, v5
	v_fma_f32 v4, -v4, v7, v6
	s_delay_alu instid0(VALU_DEP_1) | instskip(NEXT) | instid1(VALU_DEP_1)
	v_div_fmas_f32 v4, v4, v5, v7
	v_div_fixup_f32 v2, v4, v2, v3
	global_store_b32 v[0:1], v2, off
.LBB31_6:
	s_endpgm
	.section	.rodata,"a",@progbits
	.p2align	6, 0x0
	.amdhsa_kernel _ZL33flash_attn_stream_k_fixup_uniformILi256ELi32ELi1EEvPfPK15HIP_vector_typeIfLj2EEiiiiiiS1_IjLj3EES5_S5_
		.amdhsa_group_segment_fixed_size 0
		.amdhsa_private_segment_fixed_size 0
		.amdhsa_kernarg_size 76
		.amdhsa_user_sgpr_count 2
		.amdhsa_user_sgpr_dispatch_ptr 0
		.amdhsa_user_sgpr_queue_ptr 0
		.amdhsa_user_sgpr_kernarg_segment_ptr 1
		.amdhsa_user_sgpr_dispatch_id 0
		.amdhsa_user_sgpr_kernarg_preload_length 0
		.amdhsa_user_sgpr_kernarg_preload_offset 0
		.amdhsa_user_sgpr_private_segment_size 0
		.amdhsa_wavefront_size32 1
		.amdhsa_uses_dynamic_stack 0
		.amdhsa_enable_private_segment 0
		.amdhsa_system_sgpr_workgroup_id_x 1
		.amdhsa_system_sgpr_workgroup_id_y 1
		.amdhsa_system_sgpr_workgroup_id_z 1
		.amdhsa_system_sgpr_workgroup_info 0
		.amdhsa_system_vgpr_workitem_id 0
		.amdhsa_next_free_vgpr 12
		.amdhsa_next_free_sgpr 21
		.amdhsa_named_barrier_count 0
		.amdhsa_reserve_vcc 1
		.amdhsa_float_round_mode_32 0
		.amdhsa_float_round_mode_16_64 0
		.amdhsa_float_denorm_mode_32 3
		.amdhsa_float_denorm_mode_16_64 3
		.amdhsa_fp16_overflow 0
		.amdhsa_memory_ordered 1
		.amdhsa_forward_progress 1
		.amdhsa_inst_pref_size 9
		.amdhsa_round_robin_scheduling 0
		.amdhsa_exception_fp_ieee_invalid_op 0
		.amdhsa_exception_fp_denorm_src 0
		.amdhsa_exception_fp_ieee_div_zero 0
		.amdhsa_exception_fp_ieee_overflow 0
		.amdhsa_exception_fp_ieee_underflow 0
		.amdhsa_exception_fp_ieee_inexact 0
		.amdhsa_exception_int_div_zero 0
	.end_amdhsa_kernel
	.section	.text._ZL33flash_attn_stream_k_fixup_uniformILi256ELi32ELi1EEvPfPK15HIP_vector_typeIfLj2EEiiiiiiS1_IjLj3EES5_S5_,"axG",@progbits,_ZL33flash_attn_stream_k_fixup_uniformILi256ELi32ELi1EEvPfPK15HIP_vector_typeIfLj2EEiiiiiiS1_IjLj3EES5_S5_,comdat
.Lfunc_end31:
	.size	_ZL33flash_attn_stream_k_fixup_uniformILi256ELi32ELi1EEvPfPK15HIP_vector_typeIfLj2EEiiiiiiS1_IjLj3EES5_S5_, .Lfunc_end31-_ZL33flash_attn_stream_k_fixup_uniformILi256ELi32ELi1EEvPfPK15HIP_vector_typeIfLj2EEiiiiiiS1_IjLj3EES5_S5_
                                        ; -- End function
	.set _ZL33flash_attn_stream_k_fixup_uniformILi256ELi32ELi1EEvPfPK15HIP_vector_typeIfLj2EEiiiiiiS1_IjLj3EES5_S5_.num_vgpr, 12
	.set _ZL33flash_attn_stream_k_fixup_uniformILi256ELi32ELi1EEvPfPK15HIP_vector_typeIfLj2EEiiiiiiS1_IjLj3EES5_S5_.num_agpr, 0
	.set _ZL33flash_attn_stream_k_fixup_uniformILi256ELi32ELi1EEvPfPK15HIP_vector_typeIfLj2EEiiiiiiS1_IjLj3EES5_S5_.numbered_sgpr, 21
	.set _ZL33flash_attn_stream_k_fixup_uniformILi256ELi32ELi1EEvPfPK15HIP_vector_typeIfLj2EEiiiiiiS1_IjLj3EES5_S5_.num_named_barrier, 0
	.set _ZL33flash_attn_stream_k_fixup_uniformILi256ELi32ELi1EEvPfPK15HIP_vector_typeIfLj2EEiiiiiiS1_IjLj3EES5_S5_.private_seg_size, 0
	.set _ZL33flash_attn_stream_k_fixup_uniformILi256ELi32ELi1EEvPfPK15HIP_vector_typeIfLj2EEiiiiiiS1_IjLj3EES5_S5_.uses_vcc, 1
	.set _ZL33flash_attn_stream_k_fixup_uniformILi256ELi32ELi1EEvPfPK15HIP_vector_typeIfLj2EEiiiiiiS1_IjLj3EES5_S5_.uses_flat_scratch, 0
	.set _ZL33flash_attn_stream_k_fixup_uniformILi256ELi32ELi1EEvPfPK15HIP_vector_typeIfLj2EEiiiiiiS1_IjLj3EES5_S5_.has_dyn_sized_stack, 0
	.set _ZL33flash_attn_stream_k_fixup_uniformILi256ELi32ELi1EEvPfPK15HIP_vector_typeIfLj2EEiiiiiiS1_IjLj3EES5_S5_.has_recursion, 0
	.set _ZL33flash_attn_stream_k_fixup_uniformILi256ELi32ELi1EEvPfPK15HIP_vector_typeIfLj2EEiiiiiiS1_IjLj3EES5_S5_.has_indirect_call, 0
	.section	.AMDGPU.csdata,"",@progbits
; Kernel info:
; codeLenInByte = 1080
; TotalNumSgprs: 23
; NumVgprs: 12
; ScratchSize: 0
; MemoryBound: 0
; FloatMode: 240
; IeeeMode: 1
; LDSByteSize: 0 bytes/workgroup (compile time only)
; SGPRBlocks: 0
; VGPRBlocks: 0
; NumSGPRsForWavesPerEU: 23
; NumVGPRsForWavesPerEU: 12
; NamedBarCnt: 0
; Occupancy: 16
; WaveLimiterHint : 0
; COMPUTE_PGM_RSRC2:SCRATCH_EN: 0
; COMPUTE_PGM_RSRC2:USER_SGPR: 2
; COMPUTE_PGM_RSRC2:TRAP_HANDLER: 0
; COMPUTE_PGM_RSRC2:TGID_X_EN: 1
; COMPUTE_PGM_RSRC2:TGID_Y_EN: 1
; COMPUTE_PGM_RSRC2:TGID_Z_EN: 1
; COMPUTE_PGM_RSRC2:TIDIG_COMP_CNT: 0
	.section	.text._ZL33flash_attn_stream_k_fixup_generalILi256ELi32ELi1EEvPfPK15HIP_vector_typeIfLj2EEiiiiS1_IjLj3EES5_S5_S5_,"axG",@progbits,_ZL33flash_attn_stream_k_fixup_generalILi256ELi32ELi1EEvPfPK15HIP_vector_typeIfLj2EEiiiiS1_IjLj3EES5_S5_S5_,comdat
	.globl	_ZL33flash_attn_stream_k_fixup_generalILi256ELi32ELi1EEvPfPK15HIP_vector_typeIfLj2EEiiiiS1_IjLj3EES5_S5_S5_ ; -- Begin function _ZL33flash_attn_stream_k_fixup_generalILi256ELi32ELi1EEvPfPK15HIP_vector_typeIfLj2EEiiiiS1_IjLj3EES5_S5_S5_
	.p2align	8
	.type	_ZL33flash_attn_stream_k_fixup_generalILi256ELi32ELi1EEvPfPK15HIP_vector_typeIfLj2EEiiiiS1_IjLj3EES5_S5_S5_,@function
_ZL33flash_attn_stream_k_fixup_generalILi256ELi32ELi1EEvPfPK15HIP_vector_typeIfLj2EEiiiiS1_IjLj3EES5_S5_S5_: ; @_ZL33flash_attn_stream_k_fixup_generalILi256ELi32ELi1EEvPfPK15HIP_vector_typeIfLj2EEiiiiS1_IjLj3EES5_S5_S5_
; %bb.0:
	s_clause 0x1
	s_load_b128 s[4:7], s[0:1], 0x10
	s_load_b32 s16, s[0:1], 0x50
	s_bfe_u32 s2, ttmp6, 0x4000c
	s_and_b32 s3, ttmp6, 15
	s_add_co_i32 s2, s2, 1
	s_getreg_b32 s15, hwreg(HW_REG_IB_STS2, 6, 4)
	s_mul_i32 s2, ttmp9, s2
	s_mov_b32 s17, 0
	s_add_co_i32 s3, s3, s2
	s_cmp_eq_u32 s15, 0
	s_cselect_b32 s2, ttmp9, s3
	s_delay_alu instid0(SALU_CYCLE_1) | instskip(SKIP_3) | instid1(SALU_CYCLE_1)
	s_ashr_i32 s3, s2, 31
	s_wait_kmcnt 0x0
	s_ashr_i32 s19, s7, 31
	s_mov_b32 s18, s7
	s_mul_u64 s[8:9], s[18:19], s[2:3]
	s_delay_alu instid0(SALU_CYCLE_1) | instskip(NEXT) | instid1(SALU_CYCLE_1)
	s_and_b64 s[10:11], s[8:9], 0xffffffff00000000
	s_cmp_lg_u64 s[10:11], 0
	s_cbranch_scc0 .LBB32_21
; %bb.1:
	s_add_nc_u64 s[10:11], s[16:17], 0
	s_mov_b32 s23, s17
	s_xor_b64 s[10:11], s[10:11], 0
	s_mov_b32 s27, s17
	s_cvt_f32_u32 s3, s10
	s_cvt_f32_u32 s7, s11
	s_sub_nc_u64 s[20:21], 0, s[10:11]
	s_delay_alu instid0(SALU_CYCLE_2) | instskip(NEXT) | instid1(SALU_CYCLE_3)
	s_fmamk_f32 s3, s7, 0x4f800000, s3
	v_s_rcp_f32 s3, s3
	s_delay_alu instid0(TRANS32_DEP_1) | instskip(NEXT) | instid1(SALU_CYCLE_3)
	s_mul_f32 s3, s3, 0x5f7ffffc
	s_mul_f32 s7, s3, 0x2f800000
	s_delay_alu instid0(SALU_CYCLE_3) | instskip(NEXT) | instid1(SALU_CYCLE_3)
	s_trunc_f32 s7, s7
	s_fmamk_f32 s3, s7, 0xcf800000, s3
	s_cvt_u32_f32 s13, s7
	s_delay_alu instid0(SALU_CYCLE_2) | instskip(NEXT) | instid1(SALU_CYCLE_3)
	s_cvt_u32_f32 s12, s3
	s_mul_u64 s[24:25], s[20:21], s[12:13]
	s_delay_alu instid0(SALU_CYCLE_1)
	s_mul_hi_u32 s29, s12, s25
	s_mul_i32 s28, s12, s25
	s_mul_hi_u32 s22, s12, s24
	s_mul_i32 s7, s13, s24
	s_add_nc_u64 s[22:23], s[22:23], s[28:29]
	s_mul_hi_u32 s3, s13, s24
	s_mul_hi_u32 s14, s13, s25
	s_add_co_u32 s7, s22, s7
	s_add_co_ci_u32 s26, s23, s3
	s_mul_i32 s24, s13, s25
	s_add_co_ci_u32 s25, s14, 0
	s_delay_alu instid0(SALU_CYCLE_1) | instskip(SKIP_3) | instid1(SALU_CYCLE_1)
	s_add_nc_u64 s[22:23], s[26:27], s[24:25]
	s_mov_b32 s25, s17
	s_add_co_u32 s12, s12, s22
	s_cselect_b32 s3, -1, 0
	s_cmp_lg_u32 s3, 0
	s_add_co_ci_u32 s13, s13, s23
	s_mov_b32 s23, s17
	s_mul_u64 s[20:21], s[20:21], s[12:13]
	s_delay_alu instid0(SALU_CYCLE_1)
	s_mul_hi_u32 s27, s12, s21
	s_mul_i32 s26, s12, s21
	s_mul_hi_u32 s22, s12, s20
	s_mul_i32 s7, s13, s20
	s_add_nc_u64 s[22:23], s[22:23], s[26:27]
	s_mul_hi_u32 s3, s13, s20
	s_mul_hi_u32 s14, s13, s21
	s_add_co_u32 s7, s22, s7
	s_add_co_ci_u32 s24, s23, s3
	s_mul_i32 s20, s13, s21
	s_add_co_ci_u32 s21, s14, 0
	s_mov_b32 s23, s17
	s_add_nc_u64 s[20:21], s[24:25], s[20:21]
	s_delay_alu instid0(SALU_CYCLE_1) | instskip(SKIP_1) | instid1(SALU_CYCLE_1)
	s_add_co_u32 s3, s12, s20
	s_cselect_b32 s7, -1, 0
	s_cmp_lg_u32 s7, 0
	s_add_co_ci_u32 s7, s13, s21
	s_ashr_i32 s12, s9, 31
	s_delay_alu instid0(SALU_CYCLE_1) | instskip(NEXT) | instid1(SALU_CYCLE_1)
	s_mov_b32 s13, s12
	s_add_nc_u64 s[20:21], s[8:9], s[12:13]
	s_delay_alu instid0(SALU_CYCLE_1) | instskip(NEXT) | instid1(SALU_CYCLE_1)
	s_xor_b64 s[20:21], s[20:21], s[12:13]
	s_mul_hi_u32 s27, s20, s7
	s_mul_i32 s26, s20, s7
	s_mul_hi_u32 s22, s20, s3
	s_mul_hi_u32 s14, s21, s3
	s_mul_i32 s3, s21, s3
	s_add_nc_u64 s[22:23], s[22:23], s[26:27]
	s_mul_hi_u32 s9, s21, s7
	s_add_co_u32 s3, s22, s3
	s_add_co_ci_u32 s24, s23, s14
	s_mul_i32 s26, s21, s7
	s_add_co_ci_u32 s27, s9, 0
	s_delay_alu instid0(SALU_CYCLE_1) | instskip(NEXT) | instid1(SALU_CYCLE_1)
	s_add_nc_u64 s[22:23], s[24:25], s[26:27]
	s_and_b64 s[24:25], s[22:23], 0xffffffff00000000
	s_delay_alu instid0(SALU_CYCLE_1) | instskip(NEXT) | instid1(SALU_CYCLE_1)
	s_or_b32 s24, s24, s22
	s_mul_u64 s[22:23], s[10:11], s[24:25]
	s_add_nc_u64 s[26:27], s[24:25], 1
	s_sub_co_u32 s3, s20, s22
	s_cselect_b32 s7, -1, 0
	s_sub_co_i32 s9, s21, s23
	s_cmp_lg_u32 s7, 0
	s_add_nc_u64 s[28:29], s[24:25], 2
	s_sub_co_ci_u32 s9, s9, s11
	s_sub_co_u32 s14, s3, s10
	s_cselect_b32 s20, -1, 0
	s_delay_alu instid0(SALU_CYCLE_1) | instskip(SKIP_1) | instid1(SALU_CYCLE_1)
	s_cmp_lg_u32 s20, 0
	s_sub_co_ci_u32 s9, s9, 0
	s_cmp_ge_u32 s9, s11
	s_cselect_b32 s20, -1, 0
	s_cmp_ge_u32 s14, s10
	s_cselect_b32 s14, -1, 0
	s_cmp_eq_u32 s9, s11
	s_cselect_b32 s9, s14, s20
	s_delay_alu instid0(SALU_CYCLE_1) | instskip(SKIP_4) | instid1(SALU_CYCLE_1)
	s_cmp_lg_u32 s9, 0
	s_cselect_b32 s9, s28, s26
	s_cselect_b32 s14, s29, s27
	s_cmp_lg_u32 s7, 0
	s_sub_co_ci_u32 s7, s21, s23
	s_cmp_ge_u32 s7, s11
	s_cselect_b32 s20, -1, 0
	s_cmp_ge_u32 s3, s10
	s_cselect_b32 s3, -1, 0
	s_cmp_eq_u32 s7, s11
	s_cselect_b32 s3, s3, s20
	s_delay_alu instid0(SALU_CYCLE_1) | instskip(SKIP_4) | instid1(SALU_CYCLE_1)
	s_cmp_lg_u32 s3, 0
	s_mov_b32 s3, s17
	s_cselect_b32 s11, s14, s25
	s_cselect_b32 s10, s9, s24
	s_xor_b64 s[12:13], s[12:13], 0
	s_xor_b64 s[10:11], s[10:11], s[12:13]
	s_delay_alu instid0(SALU_CYCLE_1)
	s_sub_nc_u64 s[20:21], s[10:11], s[12:13]
	s_and_not1_b32 vcc_lo, exec_lo, s3
	s_cbranch_vccnz .LBB32_3
.LBB32_2:
	v_cvt_f32_u32_e32 v1, s16
	s_sub_co_i32 s7, 0, s16
	s_mov_b32 s21, 0
	s_delay_alu instid0(VALU_DEP_1) | instskip(SKIP_1) | instid1(TRANS32_DEP_1)
	v_rcp_iflag_f32_e32 v1, v1
	v_nop
	v_mul_f32_e32 v1, 0x4f7ffffe, v1
	s_delay_alu instid0(VALU_DEP_1) | instskip(NEXT) | instid1(VALU_DEP_1)
	v_cvt_u32_f32_e32 v1, v1
	v_readfirstlane_b32 s3, v1
	s_mul_i32 s7, s7, s3
	s_delay_alu instid0(SALU_CYCLE_1) | instskip(NEXT) | instid1(SALU_CYCLE_1)
	s_mul_hi_u32 s7, s3, s7
	s_add_co_i32 s3, s3, s7
	s_delay_alu instid0(SALU_CYCLE_1) | instskip(NEXT) | instid1(SALU_CYCLE_1)
	s_mul_hi_u32 s3, s8, s3
	s_mul_i32 s7, s3, s16
	s_delay_alu instid0(SALU_CYCLE_1)
	s_sub_co_i32 s7, s8, s7
	s_add_co_i32 s8, s3, 1
	s_sub_co_i32 s9, s7, s16
	s_cmp_ge_u32 s7, s16
	s_cselect_b32 s3, s8, s3
	s_cselect_b32 s7, s9, s7
	s_add_co_i32 s8, s3, 1
	s_cmp_ge_u32 s7, s16
	s_cselect_b32 s20, s8, s3
.LBB32_3:
	s_add_co_i32 s8, s2, 1
	s_delay_alu instid0(SALU_CYCLE_1) | instskip(NEXT) | instid1(SALU_CYCLE_1)
	s_ashr_i32 s9, s8, 31
	s_mul_u64 s[8:9], s[18:19], s[8:9]
	s_delay_alu instid0(SALU_CYCLE_1) | instskip(NEXT) | instid1(SALU_CYCLE_1)
	s_and_b64 s[10:11], s[8:9], 0xffffffff00000000
	s_cmp_lg_u64 s[10:11], 0
	s_cbranch_scc0 .LBB32_22
; %bb.4:
	s_add_nc_u64 s[10:11], s[16:17], 0
	s_delay_alu instid0(SALU_CYCLE_1) | instskip(SKIP_4) | instid1(SALU_CYCLE_2)
	s_xor_b64 s[12:13], s[10:11], 0
	s_mov_b32 s11, 0
	s_cvt_f32_u32 s3, s12
	s_cvt_f32_u32 s7, s13
	s_sub_nc_u64 s[24:25], 0, s[12:13]
	s_fmamk_f32 s3, s7, 0x4f800000, s3
	s_delay_alu instid0(SALU_CYCLE_3) | instskip(NEXT) | instid1(TRANS32_DEP_1)
	v_s_rcp_f32 s3, s3
	s_mul_f32 s3, s3, 0x5f7ffffc
	s_delay_alu instid0(SALU_CYCLE_3) | instskip(NEXT) | instid1(SALU_CYCLE_3)
	s_mul_f32 s7, s3, 0x2f800000
	s_trunc_f32 s7, s7
	s_delay_alu instid0(SALU_CYCLE_3) | instskip(SKIP_1) | instid1(SALU_CYCLE_2)
	s_fmamk_f32 s3, s7, 0xcf800000, s3
	s_cvt_u32_f32 s23, s7
	s_cvt_u32_f32 s22, s3
	s_delay_alu instid0(SALU_CYCLE_3) | instskip(NEXT) | instid1(SALU_CYCLE_1)
	s_mul_u64 s[26:27], s[24:25], s[22:23]
	s_mul_hi_u32 s29, s22, s27
	s_mul_i32 s28, s22, s27
	s_mul_hi_u32 s10, s22, s26
	s_mul_i32 s7, s23, s26
	s_add_nc_u64 s[28:29], s[10:11], s[28:29]
	s_mul_hi_u32 s3, s23, s26
	s_mul_hi_u32 s14, s23, s27
	s_add_co_u32 s7, s28, s7
	s_add_co_ci_u32 s10, s29, s3
	s_mul_i32 s26, s23, s27
	s_add_co_ci_u32 s27, s14, 0
	s_delay_alu instid0(SALU_CYCLE_1) | instskip(NEXT) | instid1(SALU_CYCLE_1)
	s_add_nc_u64 s[26:27], s[10:11], s[26:27]
	s_add_co_u32 s22, s22, s26
	s_cselect_b32 s3, -1, 0
	s_delay_alu instid0(SALU_CYCLE_1) | instskip(SKIP_1) | instid1(SALU_CYCLE_1)
	s_cmp_lg_u32 s3, 0
	s_add_co_ci_u32 s23, s23, s27
	s_mul_u64 s[24:25], s[24:25], s[22:23]
	s_delay_alu instid0(SALU_CYCLE_1)
	s_mul_hi_u32 s27, s22, s25
	s_mul_i32 s26, s22, s25
	s_mul_hi_u32 s10, s22, s24
	s_mul_i32 s7, s23, s24
	s_add_nc_u64 s[26:27], s[10:11], s[26:27]
	s_mul_hi_u32 s3, s23, s24
	s_mul_hi_u32 s14, s23, s25
	s_add_co_u32 s7, s26, s7
	s_add_co_ci_u32 s10, s27, s3
	s_mul_i32 s24, s23, s25
	s_add_co_ci_u32 s25, s14, 0
	s_delay_alu instid0(SALU_CYCLE_1) | instskip(NEXT) | instid1(SALU_CYCLE_1)
	s_add_nc_u64 s[24:25], s[10:11], s[24:25]
	s_add_co_u32 s3, s22, s24
	s_cselect_b32 s7, -1, 0
	s_delay_alu instid0(SALU_CYCLE_1) | instskip(SKIP_2) | instid1(SALU_CYCLE_1)
	s_cmp_lg_u32 s7, 0
	s_add_co_ci_u32 s7, s23, s25
	s_ashr_i32 s22, s9, 31
	s_mov_b32 s23, s22
	s_delay_alu instid0(SALU_CYCLE_1) | instskip(NEXT) | instid1(SALU_CYCLE_1)
	s_add_nc_u64 s[24:25], s[8:9], s[22:23]
	s_xor_b64 s[24:25], s[24:25], s[22:23]
	s_delay_alu instid0(SALU_CYCLE_1)
	s_mul_hi_u32 s27, s24, s7
	s_mul_i32 s26, s24, s7
	s_mul_hi_u32 s10, s24, s3
	s_mul_hi_u32 s14, s25, s3
	s_mul_i32 s3, s25, s3
	s_add_nc_u64 s[26:27], s[10:11], s[26:27]
	s_mul_hi_u32 s9, s25, s7
	s_add_co_u32 s3, s26, s3
	s_add_co_ci_u32 s10, s27, s14
	s_mul_i32 s28, s25, s7
	s_add_co_ci_u32 s29, s9, 0
	s_delay_alu instid0(SALU_CYCLE_1) | instskip(NEXT) | instid1(SALU_CYCLE_1)
	s_add_nc_u64 s[26:27], s[10:11], s[28:29]
	s_and_b64 s[28:29], s[26:27], 0xffffffff00000000
	s_delay_alu instid0(SALU_CYCLE_1) | instskip(NEXT) | instid1(SALU_CYCLE_1)
	s_or_b32 s28, s28, s26
	s_mul_u64 s[26:27], s[12:13], s[28:29]
	s_add_nc_u64 s[30:31], s[28:29], 1
	s_sub_co_u32 s3, s24, s26
	s_cselect_b32 s7, -1, 0
	s_sub_co_i32 s9, s25, s27
	s_cmp_lg_u32 s7, 0
	s_add_nc_u64 s[34:35], s[28:29], 2
	s_sub_co_ci_u32 s9, s9, s13
	s_sub_co_u32 s10, s3, s12
	s_cselect_b32 s14, -1, 0
	s_delay_alu instid0(SALU_CYCLE_1) | instskip(SKIP_1) | instid1(SALU_CYCLE_1)
	s_cmp_lg_u32 s14, 0
	s_sub_co_ci_u32 s9, s9, 0
	s_cmp_ge_u32 s9, s13
	s_cselect_b32 s14, -1, 0
	s_cmp_ge_u32 s10, s12
	s_cselect_b32 s10, -1, 0
	s_cmp_eq_u32 s9, s13
	s_cselect_b32 s9, s10, s14
	s_delay_alu instid0(SALU_CYCLE_1) | instskip(SKIP_4) | instid1(SALU_CYCLE_1)
	s_cmp_lg_u32 s9, 0
	s_cselect_b32 s9, s34, s30
	s_cselect_b32 s10, s35, s31
	s_cmp_lg_u32 s7, 0
	s_sub_co_ci_u32 s7, s25, s27
	s_cmp_ge_u32 s7, s13
	s_cselect_b32 s14, -1, 0
	s_cmp_ge_u32 s3, s12
	s_cselect_b32 s3, -1, 0
	s_cmp_eq_u32 s7, s13
	s_cselect_b32 s3, s3, s14
	s_delay_alu instid0(SALU_CYCLE_1) | instskip(SKIP_3) | instid1(SALU_CYCLE_1)
	s_cmp_lg_u32 s3, 0
	s_cselect_b32 s13, s10, s29
	s_cselect_b32 s12, s9, s28
	s_xor_b64 s[22:23], s[22:23], 0
	s_xor_b64 s[12:13], s[12:13], s[22:23]
	s_delay_alu instid0(SALU_CYCLE_1)
	s_sub_nc_u64 s[24:25], s[12:13], s[22:23]
	s_load_b96 s[12:14], s[0:1], 0x44
	s_cbranch_execnz .LBB32_6
.LBB32_5:
	v_cvt_f32_u32_e32 v1, s16
	s_sub_co_i32 s7, 0, s16
	s_delay_alu instid0(VALU_DEP_1) | instskip(SKIP_1) | instid1(TRANS32_DEP_1)
	v_rcp_iflag_f32_e32 v1, v1
	v_nop
	v_mul_f32_e32 v1, 0x4f7ffffe, v1
	s_delay_alu instid0(VALU_DEP_1) | instskip(NEXT) | instid1(VALU_DEP_1)
	v_cvt_u32_f32_e32 v1, v1
	v_readfirstlane_b32 s3, v1
	s_mul_i32 s7, s7, s3
	s_delay_alu instid0(SALU_CYCLE_1) | instskip(NEXT) | instid1(SALU_CYCLE_1)
	s_mul_hi_u32 s7, s3, s7
	s_add_co_i32 s3, s3, s7
	s_delay_alu instid0(SALU_CYCLE_1) | instskip(NEXT) | instid1(SALU_CYCLE_1)
	s_mul_hi_u32 s3, s8, s3
	s_mul_i32 s7, s3, s16
	s_delay_alu instid0(SALU_CYCLE_1)
	s_sub_co_i32 s7, s8, s7
	s_add_co_i32 s8, s3, 1
	s_sub_co_i32 s9, s7, s16
	s_cmp_ge_u32 s7, s16
	s_cselect_b32 s3, s8, s3
	s_cselect_b32 s7, s9, s7
	s_add_co_i32 s8, s3, 1
	s_cmp_ge_u32 s7, s16
	s_cselect_b32 s24, s8, s3
.LBB32_6:
	s_delay_alu instid0(SALU_CYCLE_1)
	s_cmp_eq_u32 s20, s24
	s_mov_b64 s[8:9], 0xffffffff
	s_cselect_b32 s3, -1, 0
	s_and_b64 s[8:9], s[20:21], s[8:9]
	s_mov_b32 s23, 0
	s_wait_kmcnt 0x0
	s_mov_b32 s22, s12
	s_mov_b32 s25, s23
	s_mul_u64 s[10:11], s[8:9], s[22:23]
	s_delay_alu instid0(SALU_CYCLE_1) | instskip(SKIP_2) | instid1(SALU_CYCLE_1)
	s_add_co_i32 s7, s11, s20
	s_mul_u64 s[10:11], s[24:25], s[22:23]
	s_lshr_b32 s12, s7, s13
	s_mul_i32 s7, s12, s14
	s_delay_alu instid0(SALU_CYCLE_1) | instskip(SKIP_2) | instid1(SALU_CYCLE_1)
	s_cmp_eq_u32 s7, s20
	s_cselect_b32 s7, -1, 0
	s_add_co_i32 s10, s11, s24
	s_lshr_b32 s10, s10, s13
	s_delay_alu instid0(SALU_CYCLE_1)
	s_cmp_eq_u32 s12, s10
	s_mul_i32 s10, s10, s14
	s_cselect_b32 s11, -1, 0
	s_cmp_lg_u32 s10, s24
	s_cselect_b32 s10, -1, 0
	s_or_b32 s3, s3, s7
	s_and_b32 s10, s11, s10
	s_delay_alu instid0(SALU_CYCLE_1) | instskip(NEXT) | instid1(SALU_CYCLE_1)
	s_or_b32 s3, s3, s10
	s_and_b32 vcc_lo, exec_lo, s3
	s_cbranch_vccnz .LBB32_24
; %bb.7:
	s_load_b256 s[24:31], s[0:1], 0x20
	s_bfe_u32 s7, ttmp6, 0x40014
	s_bfe_u32 s33, ttmp6, 0x40010
	s_lshr_b32 s3, ttmp7, 16
	s_add_co_i32 s7, s7, 1
	s_and_b32 s21, ttmp7, 0xffff
	s_add_co_i32 s33, s33, 1
	s_bfe_u32 s10, ttmp6, 0x40008
	s_mul_i32 s7, s3, s7
	s_bfe_u32 s34, ttmp6, 0x40004
	s_mul_i32 s33, s21, s33
	s_mov_b32 s11, s23
	s_add_co_i32 s7, s10, s7
	s_add_co_i32 s34, s34, s33
	s_cmp_eq_u32 s15, 0
	s_cselect_b32 s15, s21, s34
	s_cselect_b32 s3, s3, s7
	s_wait_kmcnt 0x0
	s_mov_b32 s10, s24
	s_delay_alu instid0(SALU_CYCLE_1) | instskip(SKIP_2) | instid1(SALU_CYCLE_1)
	s_mul_u64 s[8:9], s[8:9], s[10:11]
	s_load_b32 s8, s[0:1], 0x40
	s_add_co_i32 s7, s9, s20
	s_lshr_b32 s7, s7, s25
	s_delay_alu instid0(SALU_CYCLE_1) | instskip(NEXT) | instid1(SALU_CYCLE_1)
	s_mul_i32 s9, s7, s26
	s_sub_co_i32 s9, s20, s9
	s_delay_alu instid0(SALU_CYCLE_1) | instskip(NEXT) | instid1(SALU_CYCLE_1)
	s_mul_hi_u32 s10, s9, s27
	s_add_co_i32 s10, s9, s10
	s_delay_alu instid0(SALU_CYCLE_1) | instskip(NEXT) | instid1(SALU_CYCLE_1)
	s_lshr_b32 s21, s10, s28
	s_mul_i32 s10, s21, s29
	s_delay_alu instid0(SALU_CYCLE_1) | instskip(NEXT) | instid1(SALU_CYCLE_1)
	s_sub_co_i32 s10, s9, s10
	s_mul_hi_u32 s9, s10, s30
	s_delay_alu instid0(SALU_CYCLE_1) | instskip(NEXT) | instid1(SALU_CYCLE_1)
	s_add_co_i32 s9, s10, s9
	s_lshr_b32 s24, s9, s31
	s_mov_b32 s9, s23
	s_wait_kmcnt 0x0
	s_mul_i32 s8, s24, s8
	s_delay_alu instid0(SALU_CYCLE_1) | instskip(NEXT) | instid1(SALU_CYCLE_1)
	s_sub_co_i32 s8, s10, s8
	s_mul_u64 s[10:11], s[8:9], s[22:23]
	s_delay_alu instid0(SALU_CYCLE_1) | instskip(NEXT) | instid1(SALU_CYCLE_1)
	s_add_co_i32 s8, s8, s11
	s_lshr_b32 s25, s8, s13
	s_delay_alu instid0(SALU_CYCLE_1) | instskip(NEXT) | instid1(SALU_CYCLE_1)
	s_lshl_b32 s8, s25, 5
	s_add_co_i32 s8, s8, s15
	s_delay_alu instid0(SALU_CYCLE_1) | instskip(SKIP_2) | instid1(SALU_CYCLE_1)
	s_cmp_lt_i32 s8, s4
	s_cselect_b32 s8, -1, 0
	s_add_co_i32 s9, s24, s3
	s_cmp_lt_i32 s9, s6
	s_cselect_b32 s9, -1, 0
	s_delay_alu instid0(SALU_CYCLE_1) | instskip(NEXT) | instid1(SALU_CYCLE_1)
	s_and_b32 s8, s8, s9
	s_and_not1_b32 vcc_lo, exec_lo, s8
	s_cbranch_vccnz .LBB32_24
; %bb.8:
	s_mul_i32 s4, s7, s4
	s_load_b128 s[8:11], s[0:1], 0x0
	s_wait_xcnt 0x0
	s_add_co_i32 s0, s4, s15
	s_mul_i32 s21, s21, s6
	s_mul_i32 s0, s0, s5
	;; [unrolled: 1-line block ×3, first 2 shown]
	s_add_co_i32 s0, s0, s3
	s_lshl_b32 s1, s1, 13
	s_add_co_i32 s0, s0, s21
	s_add_co_i32 s15, s15, s3
	;; [unrolled: 1-line block ×3, first 2 shown]
	v_lshl_or_b32 v6, s15, 8, v0
	s_lshl_b32 s0, s0, 8
	v_cvt_f32_u32_e32 v4, s16
	s_add_co_i32 s1, s1, s0
	s_lshl_b32 s24, s16, 7
	v_or_b32_e32 v2, s1, v0
	s_add_nc_u64 s[0:1], s[16:17], 0
	v_rcp_iflag_f32_e32 v4, v4
	s_xor_b64 s[6:7], s[0:1], 0
	s_lshl_b32 s0, s2, 5
	s_cvt_f32_u32 s3, s6
	s_add_co_i32 s0, s0, s15
	s_cvt_f32_u32 s4, s7
	s_ashr_i32 s1, s0, 31
	s_mov_b32 s25, 0
	s_lshl_b64 s[0:1], s[0:1], 3
	s_fmamk_f32 s3, s4, 0x4f800000, s3
	s_wait_kmcnt 0x0
	s_add_nc_u64 s[0:1], s[10:11], s[0:1]
	s_add_co_i32 s36, s2, -1
	s_load_b64 s[28:29], s[0:1], 0x0
	v_s_rcp_f32 s3, s3
	s_wait_xcnt 0x0
	s_lshl_b64 s[0:1], s[24:25], 2
	s_sub_nc_u64 s[34:35], 0, s[6:7]
	s_add_nc_u64 s[26:27], s[10:11], s[0:1]
	v_mul_f32_e32 v4, 0x4f7ffffe, v4
	s_delay_alu instid0(TRANS32_DEP_1) | instskip(NEXT) | instid1(VALU_DEP_1)
	s_mul_f32 s3, s3, 0x5f7ffffc
	v_cvt_u32_f32_e32 v7, v4
	s_delay_alu instid0(SALU_CYCLE_2) | instskip(NEXT) | instid1(SALU_CYCLE_3)
	s_mul_f32 s4, s3, 0x2f800000
	s_trunc_f32 s4, s4
	s_wait_kmcnt 0x0
	v_mov_b32_e32 v0, s29
	global_load_b32 v1, v2, s[8:9] scale_offset
	v_ashrrev_i32_e32 v3, 31, v2
	s_fmamk_f32 s0, s4, 0xcf800000, s3
	s_cvt_u32_f32 s31, s4
	s_wait_xcnt 0x0
	s_delay_alu instid0(VALU_DEP_1)
	v_lshl_add_u64 v[2:3], v[2:3], 2, s[8:9]
	s_cvt_u32_f32 s30, s0
	s_mov_b64 s[8:9], 0xffffffff
.LBB32_9:                               ; =>This Inner Loop Header: Depth=1
	s_ashr_i32 s37, s36, 31
                                        ; implicit-def: $sgpr40_sgpr41
	s_delay_alu instid0(SALU_CYCLE_1) | instskip(NEXT) | instid1(SALU_CYCLE_1)
	s_mul_u64 s[0:1], s[36:37], s[18:19]
	s_and_b64 s[2:3], s[0:1], 0xffffffff00000000
	s_delay_alu instid0(SALU_CYCLE_1)
	s_cmp_lg_u64 s[2:3], 0
	s_mov_b32 s2, -1
	s_cbranch_scc0 .LBB32_11
; %bb.10:                               ;   in Loop: Header=BB32_9 Depth=1
	s_mul_u64 s[2:3], s[34:35], s[30:31]
	s_delay_alu instid0(SALU_CYCLE_1)
	s_mul_hi_u32 s5, s30, s3
	s_mul_i32 s4, s30, s3
	s_mul_hi_u32 s24, s30, s2
	s_mul_hi_u32 s17, s31, s2
	s_add_nc_u64 s[4:5], s[24:25], s[4:5]
	s_mul_i32 s2, s31, s2
	s_mul_hi_u32 s21, s31, s3
	s_add_co_u32 s2, s4, s2
	s_add_co_ci_u32 s24, s5, s17
	s_add_co_ci_u32 s5, s21, 0
	s_mul_i32 s4, s31, s3
	s_delay_alu instid0(SALU_CYCLE_1) | instskip(NEXT) | instid1(SALU_CYCLE_1)
	s_add_nc_u64 s[2:3], s[24:25], s[4:5]
	s_add_co_u32 s2, s30, s2
	s_cselect_b32 s4, -1, 0
	s_delay_alu instid0(SALU_CYCLE_1) | instskip(SKIP_1) | instid1(SALU_CYCLE_1)
	s_cmp_lg_u32 s4, 0
	s_add_co_ci_u32 s3, s31, s3
	s_mul_u64 s[4:5], s[34:35], s[2:3]
	s_delay_alu instid0(SALU_CYCLE_1)
	s_mul_hi_u32 s39, s2, s5
	s_mul_i32 s38, s2, s5
	s_mul_hi_u32 s24, s2, s4
	s_mul_hi_u32 s17, s3, s4
	s_mul_i32 s4, s3, s4
	s_add_nc_u64 s[38:39], s[24:25], s[38:39]
	s_mul_hi_u32 s21, s3, s5
	s_add_co_u32 s4, s38, s4
	s_add_co_ci_u32 s24, s39, s17
	s_mul_i32 s4, s3, s5
	s_add_co_ci_u32 s5, s21, 0
	s_delay_alu instid0(SALU_CYCLE_1) | instskip(NEXT) | instid1(SALU_CYCLE_1)
	s_add_nc_u64 s[4:5], s[24:25], s[4:5]
	s_add_co_u32 s17, s2, s4
	s_cselect_b32 s2, -1, 0
	s_delay_alu instid0(SALU_CYCLE_1) | instskip(SKIP_2) | instid1(SALU_CYCLE_1)
	s_cmp_lg_u32 s2, 0
	s_add_co_ci_u32 s21, s3, s5
	s_ashr_i32 s2, s1, 31
	s_mov_b32 s3, s2
	s_delay_alu instid0(SALU_CYCLE_1) | instskip(NEXT) | instid1(SALU_CYCLE_1)
	s_add_nc_u64 s[4:5], s[0:1], s[2:3]
	s_xor_b64 s[4:5], s[4:5], s[2:3]
	s_delay_alu instid0(SALU_CYCLE_1)
	s_mul_hi_u32 s39, s4, s21
	s_mul_i32 s38, s4, s21
	s_mul_hi_u32 s24, s4, s17
	s_mul_hi_u32 s29, s5, s17
	s_mul_i32 s17, s5, s17
	s_add_nc_u64 s[38:39], s[24:25], s[38:39]
	s_mul_hi_u32 s1, s5, s21
	s_add_co_u32 s17, s38, s17
	s_add_co_ci_u32 s24, s39, s29
	s_mul_i32 s40, s5, s21
	s_add_co_ci_u32 s41, s1, 0
	s_delay_alu instid0(SALU_CYCLE_1) | instskip(NEXT) | instid1(SALU_CYCLE_1)
	s_add_nc_u64 s[38:39], s[24:25], s[40:41]
	s_and_b64 s[40:41], s[38:39], 0xffffffff00000000
	s_delay_alu instid0(SALU_CYCLE_1) | instskip(NEXT) | instid1(SALU_CYCLE_1)
	s_or_b32 s40, s40, s38
	s_mul_u64 s[38:39], s[6:7], s[40:41]
	s_add_nc_u64 s[42:43], s[40:41], 1
	s_sub_co_u32 s1, s4, s38
	s_cselect_b32 s4, -1, 0
	s_sub_co_i32 s17, s5, s39
	s_cmp_lg_u32 s4, 0
	s_add_nc_u64 s[44:45], s[40:41], 2
	s_sub_co_ci_u32 s17, s17, s7
	s_sub_co_u32 s21, s1, s6
	s_cselect_b32 s24, -1, 0
	s_delay_alu instid0(SALU_CYCLE_1) | instskip(SKIP_1) | instid1(SALU_CYCLE_1)
	s_cmp_lg_u32 s24, 0
	s_sub_co_ci_u32 s17, s17, 0
	s_cmp_ge_u32 s17, s7
	s_cselect_b32 s24, -1, 0
	s_cmp_ge_u32 s21, s6
	s_cselect_b32 s21, -1, 0
	s_cmp_eq_u32 s17, s7
	s_cselect_b32 s17, s21, s24
	s_delay_alu instid0(SALU_CYCLE_1) | instskip(SKIP_4) | instid1(SALU_CYCLE_1)
	s_cmp_lg_u32 s17, 0
	s_cselect_b32 s17, s44, s42
	s_cselect_b32 s21, s45, s43
	s_cmp_lg_u32 s4, 0
	s_sub_co_ci_u32 s4, s5, s39
	s_cmp_ge_u32 s4, s7
	s_cselect_b32 s5, -1, 0
	s_cmp_ge_u32 s1, s6
	s_cselect_b32 s1, -1, 0
	s_cmp_eq_u32 s4, s7
	s_cselect_b32 s1, s1, s5
	s_delay_alu instid0(SALU_CYCLE_1) | instskip(SKIP_3) | instid1(SALU_CYCLE_1)
	s_cmp_lg_u32 s1, 0
	s_cselect_b32 s5, s21, s41
	s_cselect_b32 s4, s17, s40
	s_xor_b64 s[2:3], s[2:3], 0
	s_xor_b64 s[4:5], s[4:5], s[2:3]
	s_delay_alu instid0(SALU_CYCLE_1)
	s_sub_nc_u64 s[40:41], s[4:5], s[2:3]
	s_mov_b32 s2, 0
.LBB32_11:                              ;   in Loop: Header=BB32_9 Depth=1
	s_delay_alu instid0(SALU_CYCLE_1)
	s_and_not1_b32 vcc_lo, exec_lo, s2
	s_cbranch_vccnz .LBB32_13
; %bb.12:                               ;   in Loop: Header=BB32_9 Depth=1
	v_readfirstlane_b32 s1, v7
	s_sub_co_i32 s2, 0, s16
	s_delay_alu instid0(SALU_CYCLE_1) | instskip(NEXT) | instid1(SALU_CYCLE_1)
	s_mul_i32 s2, s2, s1
	s_mul_hi_u32 s2, s1, s2
	s_delay_alu instid0(SALU_CYCLE_1) | instskip(NEXT) | instid1(SALU_CYCLE_1)
	s_add_co_i32 s1, s1, s2
	s_mul_hi_u32 s1, s0, s1
	s_delay_alu instid0(SALU_CYCLE_1) | instskip(NEXT) | instid1(SALU_CYCLE_1)
	s_mul_i32 s2, s1, s16
	s_sub_co_i32 s0, s0, s2
	s_add_co_i32 s2, s1, 1
	s_sub_co_i32 s3, s0, s16
	s_cmp_ge_u32 s0, s16
	s_cselect_b32 s1, s2, s1
	s_cselect_b32 s0, s3, s0
	s_add_co_i32 s2, s1, 1
	s_cmp_ge_u32 s0, s16
	s_cselect_b32 s24, s2, s1
	s_delay_alu instid0(SALU_CYCLE_1)
	s_mov_b64 s[40:41], s[24:25]
.LBB32_13:                              ;   in Loop: Header=BB32_9 Depth=1
	s_delay_alu instid0(SALU_CYCLE_1)
	s_cmp_lg_u32 s20, s40
	s_mov_b32 s0, -1
                                        ; implicit-def: $vgpr4_vgpr5
                                        ; implicit-def: $sgpr24
                                        ; implicit-def: $sgpr17
                                        ; implicit-def: $sgpr21
                                        ; implicit-def: $sgpr29
	s_cbranch_scc0 .LBB32_18
; %bb.14:                               ;   in Loop: Header=BB32_9 Depth=1
	s_add_co_i32 s0, s36, s16
	v_max_num_f32_e64 v4, s28, s28
	s_lshl_b32 s0, s0, 5
	s_mov_b32 s29, s20
	s_add_co_i32 s0, s0, s15
	s_load_b64 s[38:39], s[10:11], s0 offset:0x0 scale_offset
	s_wait_xcnt 0x0
	v_readfirstlane_b32 s0, v4
	s_wait_kmcnt 0x0
	v_max_num_f32_e64 v5, s38, s38
	s_delay_alu instid0(VALU_DEP_1) | instskip(SKIP_1) | instid1(SALU_CYCLE_3)
	v_readfirstlane_b32 s1, v5
	s_max_num_f32 s17, s0, s1
	s_sub_f32 s33, s28, s17
	s_sub_f32 s37, s38, s17
	s_delay_alu instid0(SALU_CYCLE_2)
	s_cmp_nlt_f32 s33, 0xc2ce8ed0
	s_cselect_b32 s1, -1, 0
	s_cmp_ngt_f32 s33, 0x42b17218
	s_cselect_b32 s2, -1, 0
	s_cmp_ge_f32 s33, 0xc1a00000
	s_cselect_b32 s0, -1, 0
	s_cmp_nlt_f32 s37, 0xc2ce8ed0
	s_cselect_b32 s3, -1, 0
	s_cmp_ngt_f32 s37, 0x42b17218
	s_cselect_b32 s4, -1, 0
	s_cmp_ge_f32 s37, 0xc1a00000
	s_cselect_b32 s5, -1, 0
	s_and_b64 s[42:43], s[40:41], s[8:9]
	s_delay_alu instid0(SALU_CYCLE_1) | instskip(NEXT) | instid1(SALU_CYCLE_1)
	s_mul_u64 s[42:43], s[42:43], s[22:23]
	s_add_co_i32 s21, s43, s40
	s_delay_alu instid0(SALU_CYCLE_1) | instskip(NEXT) | instid1(SALU_CYCLE_1)
	s_lshr_b32 s21, s21, s13
	s_mul_i32 s24, s21, s14
	s_delay_alu instid0(SALU_CYCLE_1) | instskip(SKIP_3) | instid1(SALU_CYCLE_1)
	s_cmp_eq_u32 s24, s40
	s_cselect_b32 s24, -1, 0
	s_cmp_lt_u32 s21, s12
	s_cselect_b32 s21, -1, 0
	s_or_b32 s21, s21, s24
	s_mov_b32 s24, -1
	s_and_b32 vcc_lo, exec_lo, s21
	s_mov_b32 s21, s36
	s_cbranch_vccnz .LBB32_16
; %bb.15:                               ;   in Loop: Header=BB32_9 Depth=1
	s_add_co_i32 s21, s36, -1
	s_mov_b32 s24, 0
	s_mov_b32 s29, s40
.LBB32_16:                              ;   in Loop: Header=BB32_9 Depth=1
	v_lshl_add_u32 v4, s36, 13, v6
	s_mul_f32 s40, s33, 0x3fb8aa3b
	s_mul_f32 s38, s37, 0x3fb8aa3b
	s_delay_alu instid0(SALU_CYCLE_2)
	s_xor_b32 s42, s40, 0x80000000
	global_load_b32 v5, v4, s[26:27] scale_offset
	s_fmamk_f32 s42, s33, 0x3fb8aa3b, s42
	s_rndne_f32 s44, s40
	s_xor_b32 s41, s38, 0x80000000
	s_rndne_f32 s43, s38
	s_fmamk_f32 s33, s33, 0x32a5705f, s42
	s_sub_f32 s40, s40, s44
	s_fmamk_f32 s41, s37, 0x3fb8aa3b, s41
	s_sub_f32 s38, s38, s43
	s_delay_alu instid0(SALU_CYCLE_1) | instskip(NEXT) | instid1(SALU_CYCLE_1)
	s_add_f32 s33, s40, s33
	s_fmamk_f32 s37, s37, 0x32a5705f, s41
	s_cvt_i32_f32 s40, s44
	s_delay_alu instid0(SALU_CYCLE_1) | instskip(NEXT) | instid1(SALU_CYCLE_1)
	v_s_exp_f32 s33, s33
	s_add_f32 s37, s38, s37
	s_cvt_i32_f32 s38, s43
	s_delay_alu instid0(SALU_CYCLE_2) | instskip(NEXT) | instid1(TRANS32_DEP_2)
	v_s_exp_f32 s37, s37
	v_ldexp_f32 v8, s33, s40
	s_wait_xcnt 0x0
	s_delay_alu instid0(TRANS32_DEP_1) | instskip(NEXT) | instid1(VALU_DEP_2)
	v_ldexp_f32 v4, s37, s38
	v_cndmask_b32_e64 v8, 0, v8, s1
	s_delay_alu instid0(VALU_DEP_1) | instskip(NEXT) | instid1(VALU_DEP_1)
	v_cndmask_b32_e64 v9, 0x7f800000, v8, s2
	v_dual_cndmask_b32 v4, 0, v4, s3 :: v_dual_cndmask_b32 v10, 0, v9, s0
	s_delay_alu instid0(VALU_DEP_1) | instskip(NEXT) | instid1(VALU_DEP_1)
	v_cndmask_b32_e64 v4, 0x7f800000, v4, s4
	v_dual_cndmask_b32 v8, 0, v4, s5 :: v_dual_mov_b32 v4, s39
	s_wait_loadcnt 0x0
	s_delay_alu instid0(VALU_DEP_1) | instskip(NEXT) | instid1(VALU_DEP_1)
	v_pk_mul_f32 v[4:5], v[4:5], v[8:9] op_sel_hi:[1,0]
	v_pk_fma_f32 v[4:5], v[0:1], v[10:11], v[4:5] op_sel_hi:[1,0,1]
	s_cbranch_execz .LBB32_19
.LBB32_17:                              ;   in Loop: Header=BB32_9 Depth=1
	s_and_not1_b32 vcc_lo, exec_lo, s24
	s_cbranch_vccnz .LBB32_20
	s_branch .LBB32_23
.LBB32_18:                              ;   in Loop: Header=BB32_9 Depth=1
	s_and_not1_b32 vcc_lo, exec_lo, s0
	s_cbranch_vccnz .LBB32_17
.LBB32_19:                              ;   in Loop: Header=BB32_9 Depth=1
	s_wait_loadcnt 0x0
	v_mov_b64_e32 v[4:5], v[0:1]
	s_add_co_i32 s21, s36, -1
	s_mov_b32 s29, s20
	s_mov_b32 s17, s28
	s_cbranch_execz .LBB32_23
.LBB32_20:                              ;   in Loop: Header=BB32_9 Depth=1
	s_wait_loadcnt 0x0
	s_delay_alu instid0(VALU_DEP_1)
	v_mov_b64_e32 v[0:1], v[4:5]
	s_mov_b32 s20, s29
	s_mov_b32 s36, s21
	;; [unrolled: 1-line block ×3, first 2 shown]
	s_branch .LBB32_9
.LBB32_21:
                                        ; implicit-def: $sgpr20_sgpr21
	s_branch .LBB32_2
.LBB32_22:
                                        ; implicit-def: $sgpr24_sgpr25
	s_load_b96 s[12:14], s[0:1], 0x44
	s_branch .LBB32_5
.LBB32_23:
	s_delay_alu instid0(VALU_DEP_1) | instskip(SKIP_1) | instid1(VALU_DEP_1)
	v_div_scale_f32 v0, null, v4, v4, v5
	s_wait_loadcnt 0x0
	v_rcp_f32_e32 v1, v0
	v_nop
	s_delay_alu instid0(TRANS32_DEP_1) | instskip(NEXT) | instid1(VALU_DEP_1)
	v_fma_f32 v6, -v0, v1, 1.0
	v_fmac_f32_e32 v1, v6, v1
	v_div_scale_f32 v6, vcc_lo, v5, v4, v5
	s_delay_alu instid0(VALU_DEP_1) | instskip(NEXT) | instid1(VALU_DEP_1)
	v_mul_f32_e32 v7, v6, v1
	v_fma_f32 v8, -v0, v7, v6
	s_delay_alu instid0(VALU_DEP_1) | instskip(NEXT) | instid1(VALU_DEP_1)
	v_fmac_f32_e32 v7, v8, v1
	v_fma_f32 v0, -v0, v7, v6
	s_delay_alu instid0(VALU_DEP_1) | instskip(NEXT) | instid1(VALU_DEP_1)
	v_div_fmas_f32 v0, v0, v1, v7
	v_div_fixup_f32 v0, v0, v4, v5
	global_store_b32 v[2:3], v0, off
.LBB32_24:
	s_endpgm
	.section	.rodata,"a",@progbits
	.p2align	6, 0x0
	.amdhsa_kernel _ZL33flash_attn_stream_k_fixup_generalILi256ELi32ELi1EEvPfPK15HIP_vector_typeIfLj2EEiiiiS1_IjLj3EES5_S5_S5_
		.amdhsa_group_segment_fixed_size 0
		.amdhsa_private_segment_fixed_size 0
		.amdhsa_kernarg_size 336
		.amdhsa_user_sgpr_count 2
		.amdhsa_user_sgpr_dispatch_ptr 0
		.amdhsa_user_sgpr_queue_ptr 0
		.amdhsa_user_sgpr_kernarg_segment_ptr 1
		.amdhsa_user_sgpr_dispatch_id 0
		.amdhsa_user_sgpr_kernarg_preload_length 0
		.amdhsa_user_sgpr_kernarg_preload_offset 0
		.amdhsa_user_sgpr_private_segment_size 0
		.amdhsa_wavefront_size32 1
		.amdhsa_uses_dynamic_stack 0
		.amdhsa_enable_private_segment 0
		.amdhsa_system_sgpr_workgroup_id_x 1
		.amdhsa_system_sgpr_workgroup_id_y 1
		.amdhsa_system_sgpr_workgroup_id_z 1
		.amdhsa_system_sgpr_workgroup_info 0
		.amdhsa_system_vgpr_workitem_id 0
		.amdhsa_next_free_vgpr 12
		.amdhsa_next_free_sgpr 46
		.amdhsa_named_barrier_count 0
		.amdhsa_reserve_vcc 1
		.amdhsa_float_round_mode_32 0
		.amdhsa_float_round_mode_16_64 0
		.amdhsa_float_denorm_mode_32 3
		.amdhsa_float_denorm_mode_16_64 3
		.amdhsa_fp16_overflow 0
		.amdhsa_memory_ordered 1
		.amdhsa_forward_progress 1
		.amdhsa_inst_pref_size 27
		.amdhsa_round_robin_scheduling 0
		.amdhsa_exception_fp_ieee_invalid_op 0
		.amdhsa_exception_fp_denorm_src 0
		.amdhsa_exception_fp_ieee_div_zero 0
		.amdhsa_exception_fp_ieee_overflow 0
		.amdhsa_exception_fp_ieee_underflow 0
		.amdhsa_exception_fp_ieee_inexact 0
		.amdhsa_exception_int_div_zero 0
	.end_amdhsa_kernel
	.section	.text._ZL33flash_attn_stream_k_fixup_generalILi256ELi32ELi1EEvPfPK15HIP_vector_typeIfLj2EEiiiiS1_IjLj3EES5_S5_S5_,"axG",@progbits,_ZL33flash_attn_stream_k_fixup_generalILi256ELi32ELi1EEvPfPK15HIP_vector_typeIfLj2EEiiiiS1_IjLj3EES5_S5_S5_,comdat
.Lfunc_end32:
	.size	_ZL33flash_attn_stream_k_fixup_generalILi256ELi32ELi1EEvPfPK15HIP_vector_typeIfLj2EEiiiiS1_IjLj3EES5_S5_S5_, .Lfunc_end32-_ZL33flash_attn_stream_k_fixup_generalILi256ELi32ELi1EEvPfPK15HIP_vector_typeIfLj2EEiiiiS1_IjLj3EES5_S5_S5_
                                        ; -- End function
	.set _ZL33flash_attn_stream_k_fixup_generalILi256ELi32ELi1EEvPfPK15HIP_vector_typeIfLj2EEiiiiS1_IjLj3EES5_S5_S5_.num_vgpr, 12
	.set _ZL33flash_attn_stream_k_fixup_generalILi256ELi32ELi1EEvPfPK15HIP_vector_typeIfLj2EEiiiiS1_IjLj3EES5_S5_S5_.num_agpr, 0
	.set _ZL33flash_attn_stream_k_fixup_generalILi256ELi32ELi1EEvPfPK15HIP_vector_typeIfLj2EEiiiiS1_IjLj3EES5_S5_S5_.numbered_sgpr, 46
	.set _ZL33flash_attn_stream_k_fixup_generalILi256ELi32ELi1EEvPfPK15HIP_vector_typeIfLj2EEiiiiS1_IjLj3EES5_S5_S5_.num_named_barrier, 0
	.set _ZL33flash_attn_stream_k_fixup_generalILi256ELi32ELi1EEvPfPK15HIP_vector_typeIfLj2EEiiiiS1_IjLj3EES5_S5_S5_.private_seg_size, 0
	.set _ZL33flash_attn_stream_k_fixup_generalILi256ELi32ELi1EEvPfPK15HIP_vector_typeIfLj2EEiiiiS1_IjLj3EES5_S5_S5_.uses_vcc, 1
	.set _ZL33flash_attn_stream_k_fixup_generalILi256ELi32ELi1EEvPfPK15HIP_vector_typeIfLj2EEiiiiS1_IjLj3EES5_S5_S5_.uses_flat_scratch, 0
	.set _ZL33flash_attn_stream_k_fixup_generalILi256ELi32ELi1EEvPfPK15HIP_vector_typeIfLj2EEiiiiS1_IjLj3EES5_S5_S5_.has_dyn_sized_stack, 0
	.set _ZL33flash_attn_stream_k_fixup_generalILi256ELi32ELi1EEvPfPK15HIP_vector_typeIfLj2EEiiiiS1_IjLj3EES5_S5_S5_.has_recursion, 0
	.set _ZL33flash_attn_stream_k_fixup_generalILi256ELi32ELi1EEvPfPK15HIP_vector_typeIfLj2EEiiiiS1_IjLj3EES5_S5_S5_.has_indirect_call, 0
	.section	.AMDGPU.csdata,"",@progbits
; Kernel info:
; codeLenInByte = 3352
; TotalNumSgprs: 48
; NumVgprs: 12
; ScratchSize: 0
; MemoryBound: 0
; FloatMode: 240
; IeeeMode: 1
; LDSByteSize: 0 bytes/workgroup (compile time only)
; SGPRBlocks: 0
; VGPRBlocks: 0
; NumSGPRsForWavesPerEU: 48
; NumVGPRsForWavesPerEU: 12
; NamedBarCnt: 0
; Occupancy: 16
; WaveLimiterHint : 0
; COMPUTE_PGM_RSRC2:SCRATCH_EN: 0
; COMPUTE_PGM_RSRC2:USER_SGPR: 2
; COMPUTE_PGM_RSRC2:TRAP_HANDLER: 0
; COMPUTE_PGM_RSRC2:TGID_X_EN: 1
; COMPUTE_PGM_RSRC2:TGID_Y_EN: 1
; COMPUTE_PGM_RSRC2:TGID_Z_EN: 1
; COMPUTE_PGM_RSRC2:TIDIG_COMP_CNT: 0
	.section	.text._ZL26flash_attn_combine_resultsILi256EEvPKfPK15HIP_vector_typeIfLj2EEPfi,"axG",@progbits,_ZL26flash_attn_combine_resultsILi256EEvPKfPK15HIP_vector_typeIfLj2EEPfi,comdat
	.globl	_ZL26flash_attn_combine_resultsILi256EEvPKfPK15HIP_vector_typeIfLj2EEPfi ; -- Begin function _ZL26flash_attn_combine_resultsILi256EEvPKfPK15HIP_vector_typeIfLj2EEPfi
	.p2align	8
	.type	_ZL26flash_attn_combine_resultsILi256EEvPKfPK15HIP_vector_typeIfLj2EEPfi,@function
_ZL26flash_attn_combine_resultsILi256EEvPKfPK15HIP_vector_typeIfLj2EEPfi: ; @_ZL26flash_attn_combine_resultsILi256EEvPKfPK15HIP_vector_typeIfLj2EEPfi
; %bb.0:
	s_clause 0x2
	s_load_b128 s[4:7], s[0:1], 0x0
	s_load_b96 s[8:10], s[0:1], 0x10
	s_load_b64 s[2:3], s[0:1], 0x20
	s_bfe_u32 s11, ttmp6, 0x4000c
	s_wait_xcnt 0x0
	s_and_b32 s0, ttmp6, 15
	s_add_co_i32 s11, s11, 1
	s_and_b32 s12, ttmp7, 0xffff
	s_mul_i32 s1, ttmp9, s11
	s_bfe_u32 s11, ttmp6, 0x40010
	s_bfe_u32 s13, ttmp6, 0x40014
	s_add_co_i32 s11, s11, 1
	s_add_co_i32 s0, s0, s1
	s_mul_i32 s1, s12, s11
	s_bfe_u32 s11, ttmp6, 0x40004
	s_lshr_b32 s14, ttmp7, 16
	s_add_co_i32 s13, s13, 1
	s_add_co_i32 s11, s11, s1
	s_mul_i32 s1, s14, s13
	s_bfe_u32 s13, ttmp6, 0x40008
	s_getreg_b32 s15, hwreg(HW_REG_IB_STS2, 6, 4)
	s_add_co_i32 s13, s13, s1
	s_cmp_eq_u32 s15, 0
	v_mov_b32_e32 v2, v0
	s_cselect_b32 s1, s14, s13
	s_cselect_b32 s0, ttmp9, s0
	s_wait_kmcnt 0x0
	s_mul_i32 s1, s2, s1
	s_cselect_b32 s2, s12, s11
	s_add_co_i32 s0, s1, s0
	s_lshl_b32 s12, s10, 1
	s_mul_i32 s11, s0, s3
	s_mov_b32 s13, exec_lo
	s_add_co_i32 s11, s11, s2
	s_delay_alu instid0(SALU_CYCLE_1)
	s_mul_i32 s2, s11, s10
	v_cmpx_gt_i32_e64 s12, v0
	s_cbranch_execz .LBB33_13
; %bb.1:
	v_xad_u32 v1, v0, -1, s12
	s_ashr_i32 s3, s2, 31
	s_mov_b32 s0, -1
	s_mov_b32 s14, exec_lo
	s_delay_alu instid0(VALU_DEP_1)
	v_cmpx_lt_u32_e32 0xff, v1
	s_cbranch_execz .LBB33_10
; %bb.2:
	v_lshrrev_b32_e32 v6, 8, v1
	v_or_b32_e32 v1, 0x100, v0
	s_lshl_b64 s[0:1], s[2:3], 3
	v_mov_b32_e32 v4, 0
	s_add_nc_u64 s[0:1], s[6:7], s[0:1]
	v_add_nc_u32_e32 v2, -1, v6
	s_delay_alu instid0(VALU_DEP_1) | instskip(SKIP_1) | instid1(VALU_DEP_2)
	v_lshrrev_b32_e32 v3, 1, v2
	v_cmp_lt_u32_e32 vcc_lo, 13, v2
	v_add_nc_u32_e32 v7, 1, v3
	v_mov_b64_e32 v[2:3], v[0:1]
	s_and_saveexec_b32 s15, vcc_lo
	s_cbranch_execz .LBB33_6
; %bb.3:
	v_mov_b64_e32 v[2:3], v[0:1]
	v_dual_mov_b32 v5, 0 :: v_dual_bitop2_b32 v8, -8, v7 bitop3:0x40
	v_lshl_add_u32 v9, v0, 2, 0
	s_mov_b32 s16, 0
	s_mov_b32 s17, 0
.LBB33_4:                               ; =>This Inner Loop Header: Depth=1
	s_delay_alu instid0(VALU_DEP_2) | instskip(NEXT) | instid1(VALU_DEP_4)
	v_dual_mov_b32 v4, v2 :: v_dual_mov_b32 v11, v5
	v_dual_mov_b32 v13, v5 :: v_dual_add_nc_u32 v10, 0x200, v3
	v_dual_mov_b32 v15, v5 :: v_dual_add_nc_u32 v12, 0x400, v3
	s_delay_alu instid0(VALU_DEP_3) | instskip(SKIP_1) | instid1(VALU_DEP_4)
	v_lshl_add_u64 v[24:25], v[4:5], 2, s[0:1]
	v_dual_mov_b32 v4, v3 :: v_dual_add_nc_u32 v8, -8, v8
	v_lshl_add_u64 v[10:11], v[10:11], 2, s[0:1]
	v_dual_mov_b32 v17, v5 :: v_dual_add_nc_u32 v14, 0x600, v3
	s_delay_alu instid0(VALU_DEP_3)
	v_lshl_add_u64 v[26:27], v[4:5], 2, s[0:1]
	v_add_nc_u32_e32 v4, 0x200, v2
	global_load_b32 v1, v[24:25], off
	v_lshl_add_u64 v[12:13], v[12:13], 2, s[0:1]
	v_dual_mov_b32 v19, v5 :: v_dual_add_nc_u32 v16, 0x800, v3
	global_load_b32 v28, v[26:27], off
	s_wait_xcnt 0x1
	v_lshl_add_u64 v[24:25], v[4:5], 2, s[0:1]
	v_add_nc_u32_e32 v4, 0x400, v2
	s_clause 0x1
	global_load_b32 v29, v[24:25], off
	global_load_b32 v30, v[10:11], off
	s_wait_xcnt 0x2
	v_lshl_add_u64 v[26:27], v[4:5], 2, s[0:1]
	v_add_nc_u32_e32 v4, 0x600, v2
	s_clause 0x1
	global_load_b32 v24, v[26:27], off
	global_load_b32 v25, v[12:13], off
	s_wait_xcnt 0x2
	v_lshl_add_u64 v[10:11], v[4:5], 2, s[0:1]
	v_add_nc_u32_e32 v4, 0x800, v2
	v_lshl_add_u64 v[14:15], v[14:15], 2, s[0:1]
	s_clause 0x1
	global_load_b32 v26, v[10:11], off
	global_load_b32 v27, v[14:15], off
	s_wait_xcnt 0x2
	v_lshl_add_u64 v[12:13], v[4:5], 2, s[0:1]
	v_add_nc_u32_e32 v4, 0xa00, v2
	v_dual_mov_b32 v21, v5 :: v_dual_add_nc_u32 v18, 0xa00, v3
	v_lshl_add_u64 v[16:17], v[16:17], 2, s[0:1]
	v_dual_mov_b32 v23, v5 :: v_dual_add_nc_u32 v20, 0xc00, v3
	s_wait_xcnt 0x1
	v_lshl_add_u64 v[10:11], v[4:5], 2, s[0:1]
	v_add_nc_u32_e32 v4, 0xc00, v2
	s_clause 0x1
	global_load_b32 v14, v[12:13], off
	global_load_b32 v15, v[16:17], off
	v_add_nc_u32_e32 v22, 0xe00, v3
	v_lshl_add_u64 v[18:19], v[18:19], 2, s[0:1]
	v_lshl_add_u64 v[20:21], v[20:21], 2, s[0:1]
	s_wait_xcnt 0x1
	v_lshl_add_u64 v[12:13], v[4:5], 2, s[0:1]
	v_add_nc_u32_e32 v4, 0xe00, v2
	s_clause 0x1
	global_load_b32 v16, v[10:11], off
	global_load_b32 v17, v[18:19], off
	v_lshl_add_u64 v[22:23], v[22:23], 2, s[0:1]
	s_add_co_i32 s17, s17, 16
	v_cmp_eq_u32_e32 vcc_lo, 0, v8
	s_wait_xcnt 0x1
	v_lshl_add_u64 v[10:11], v[4:5], 2, s[0:1]
	s_clause 0x3
	global_load_b32 v18, v[12:13], off
	global_load_b32 v19, v[20:21], off
	;; [unrolled: 1-line block ×4, first 2 shown]
	v_dual_mov_b32 v4, s17 :: v_dual_add_nc_u32 v3, 0x1000, v3
	v_add_nc_u32_e32 v2, 0x1000, v2
	s_or_b32 s16, vcc_lo, s16
	s_wait_loadcnt 0xe
	ds_store_2addr_stride64_b32 v9, v1, v28 offset1:4
	s_wait_loadcnt 0xc
	ds_store_2addr_stride64_b32 v9, v29, v30 offset0:8 offset1:12
	s_wait_loadcnt 0xa
	ds_store_2addr_stride64_b32 v9, v24, v25 offset0:16 offset1:20
	s_wait_loadcnt 0x8
	ds_store_2addr_stride64_b32 v9, v26, v27 offset0:24 offset1:28
	s_wait_loadcnt 0x6
	ds_store_2addr_stride64_b32 v9, v14, v15 offset0:32 offset1:36
	s_wait_loadcnt 0x4
	ds_store_2addr_stride64_b32 v9, v16, v17 offset0:40 offset1:44
	s_wait_loadcnt 0x2
	ds_store_2addr_stride64_b32 v9, v18, v19 offset0:48 offset1:52
	s_wait_loadcnt 0x0
	ds_store_2addr_stride64_b32 v9, v31, v32 offset0:56 offset1:60
	v_add_nc_u32_e32 v9, 0x4000, v9
	s_wait_xcnt 0x0
	s_and_not1_b32 exec_lo, exec_lo, s16
	s_cbranch_execnz .LBB33_4
; %bb.5:
	s_or_b32 exec_lo, exec_lo, s16
.LBB33_6:
	s_delay_alu instid0(SALU_CYCLE_1) | instskip(SKIP_3) | instid1(VALU_DEP_1)
	s_or_b32 exec_lo, exec_lo, s15
	v_and_b32_e32 v1, 7, v7
	s_mov_b32 s16, 0
	s_mov_b32 s15, exec_lo
	v_cmpx_ne_u32_e32 0, v1
	s_cbranch_execz .LBB33_9
; %bb.7:
	v_lshlrev_b32_e32 v5, 2, v0
	s_delay_alu instid0(VALU_DEP_1) | instskip(NEXT) | instid1(VALU_DEP_1)
	v_lshl_or_b32 v4, v4, 10, v5
	v_dual_mov_b32 v5, 0 :: v_dual_add_nc_u32 v7, 0, v4
.LBB33_8:                               ; =>This Inner Loop Header: Depth=1
	v_dual_mov_b32 v4, v2 :: v_dual_add_nc_u32 v1, -1, v1
	v_add_nc_u32_e32 v2, 0x200, v2
	s_delay_alu instid0(VALU_DEP_2) | instskip(SKIP_1) | instid1(VALU_DEP_4)
	v_lshl_add_u64 v[8:9], v[4:5], 2, s[0:1]
	v_dual_mov_b32 v4, v3 :: v_dual_add_nc_u32 v3, 0x200, v3
	v_cmp_eq_u32_e32 vcc_lo, 0, v1
	s_delay_alu instid0(VALU_DEP_2)
	v_lshl_add_u64 v[10:11], v[4:5], 2, s[0:1]
	s_clause 0x1
	global_load_b32 v4, v[8:9], off
	global_load_b32 v12, v[10:11], off
	s_or_b32 s16, vcc_lo, s16
	s_wait_loadcnt 0x0
	ds_store_2addr_stride64_b32 v7, v4, v12 offset1:4
	v_add_nc_u32_e32 v7, 0x800, v7
	s_and_not1_b32 exec_lo, exec_lo, s16
	s_cbranch_execnz .LBB33_8
.LBB33_9:
	s_or_b32 exec_lo, exec_lo, s15
	v_add_nc_u32_e32 v1, 1, v6
	s_delay_alu instid0(VALU_DEP_1) | instskip(NEXT) | instid1(VALU_DEP_1)
	v_and_b32_e32 v2, 0x1fffffe, v1
	v_cmp_ne_u32_e32 vcc_lo, v1, v2
	v_lshl_or_b32 v2, v2, 8, v0
	s_or_not1_b32 s0, vcc_lo, exec_lo
.LBB33_10:
	s_or_b32 exec_lo, exec_lo, s14
	s_delay_alu instid0(SALU_CYCLE_1)
	s_and_b32 exec_lo, exec_lo, s0
	s_cbranch_execz .LBB33_13
; %bb.11:
	v_mov_b32_e32 v3, 0
	s_lshl_b64 s[0:1], s[2:3], 3
	v_lshl_add_u32 v1, v2, 2, 0
	s_add_nc_u64 s[0:1], s[6:7], s[0:1]
	s_delay_alu instid0(VALU_DEP_2) | instid1(SALU_CYCLE_1)
	v_lshl_add_u64 v[4:5], v[2:3], 2, s[0:1]
	s_mov_b32 s0, 0
.LBB33_12:                              ; =>This Inner Loop Header: Depth=1
	global_load_b32 v3, v[4:5], off
	v_add_nc_u32_e32 v2, 0x100, v2
	s_wait_xcnt 0x0
	v_add_nc_u64_e32 v[4:5], 0x400, v[4:5]
	s_delay_alu instid0(VALU_DEP_2)
	v_cmp_le_i32_e32 vcc_lo, s12, v2
	s_or_b32 s0, vcc_lo, s0
	s_wait_loadcnt 0x0
	ds_store_b32 v1, v3
	v_add_nc_u32_e32 v1, 0x400, v1
	s_and_not1_b32 exec_lo, exec_lo, s0
	s_cbranch_execnz .LBB33_12
.LBB33_13:
	s_or_b32 exec_lo, exec_lo, s13
	v_mov_b32_e32 v1, 0
	s_wait_dscnt 0x0
	s_barrier_signal -1
	s_barrier_wait -1
	ds_load_b32 v1, v1
	s_cmp_lt_i32 s10, 2
	s_wait_dscnt 0x0
	v_readfirstlane_b32 s3, v1
	s_cbranch_scc1 .LBB33_21
; %bb.14:
	s_cmp_eq_u32 s10, 2
	s_cbranch_scc1 .LBB33_18
; %bb.15:
	v_dual_mov_b32 v3, s3 :: v_dual_mov_b32 v4, s3
	s_add_co_i32 s1, s10, -1
	s_add_co_i32 s7, 0, 8
	s_and_b32 s3, s1, -2
	s_mov_b32 s6, 2
.LBB33_16:                              ; =>This Inner Loop Header: Depth=1
	v_dual_mov_b32 v1, s7 :: v_dual_mov_b32 v2, v3
	s_cmp_lg_u32 s3, s6
	s_cselect_b32 s12, -1, 0
	ds_load_2addr_b32 v[6:7], v1 offset1:2
	v_dual_mov_b32 v1, v4 :: v_dual_max_num_f32 v5, v2, v2
	s_delay_alu instid0(VALU_DEP_1)
	v_max_num_f32_e32 v3, v1, v1
	s_wait_dscnt 0x0
	v_cmp_u_f32_e32 vcc_lo, v7, v7
	v_max_num_f32_e32 v7, v7, v7
	v_cndmask_b32_e64 v4, 0, 1, vcc_lo
	v_cmp_u_f32_e32 vcc_lo, v6, v6
	v_max_num_f32_e32 v6, v6, v6
	s_delay_alu instid0(VALU_DEP_3) | instskip(SKIP_1) | instid1(VALU_DEP_3)
	v_readfirstlane_b32 s0, v4
	v_cndmask_b32_e64 v8, 0, 1, vcc_lo
	v_dual_max_num_f32 v4, v3, v7 :: v_dual_max_num_f32 v3, v5, v6
	s_lshl_b32 s0, s0, 1
	s_delay_alu instid0(VALU_DEP_2) | instskip(SKIP_1) | instid1(SALU_CYCLE_1)
	v_readfirstlane_b32 s13, v8
	s_or_b32 s0, s13, s0
	s_and_b32 s13, s0, 3
	s_delay_alu instid0(SALU_CYCLE_1)
	s_cmp_lg_u32 s13, 0
	s_cselect_b32 s0, -1, 0
	s_cmp_eq_u32 s13, 0
	s_cselect_b32 s13, -1, 0
	s_add_co_i32 s6, s6, 2
	s_and_b32 s12, s13, s12
	s_add_co_i32 s7, s7, 16
	s_and_b32 vcc_lo, exec_lo, s12
	s_cbranch_vccnz .LBB33_16
; %bb.17:
	v_dual_cndmask_b32 v2, v3, v2, s0 :: v_dual_cndmask_b32 v1, v4, v1, s0
	s_add_co_i32 s6, s6, -4
	s_and_b32 s7, s0, exec_lo
	s_cselect_b32 s6, s6, s1
	s_delay_alu instid0(VALU_DEP_1) | instskip(SKIP_3) | instid1(VALU_DEP_1)
	v_dual_max_num_f32 v2, v2, v2 :: v_dual_max_num_f32 v1, v1, v1
	s_or_b32 s6, s6, 1
	s_cmp_lg_u32 s1, s3
	s_cselect_b32 s1, -1, 0
	v_readfirstlane_b32 s7, v2
	v_readfirstlane_b32 s12, v1
	s_or_b32 s0, s1, s0
	s_max_num_f32 s3, s7, s12
	s_and_b32 vcc_lo, exec_lo, s0
	s_cbranch_vccnz .LBB33_19
	s_branch .LBB33_21
.LBB33_18:
	s_mov_b32 s6, 1
	s_cbranch_execz .LBB33_21
.LBB33_19:
	s_lshl_b32 s1, s6, 3
	s_sub_co_i32 s0, s10, s6
	s_add_co_i32 s1, s1, 0
.LBB33_20:                              ; =>This Inner Loop Header: Depth=1
	s_delay_alu instid0(SALU_CYCLE_1) | instskip(NEXT) | instid1(SALU_CYCLE_1)
	v_mov_b32_e32 v1, s1
	v_max_num_f32_e64 v2, s3, s3
	s_add_co_i32 s0, s0, -1
	s_add_co_i32 s1, s1, 8
	s_cmp_eq_u32 s0, 0
	ds_load_b32 v1, v1
	v_readfirstlane_b32 s3, v2
	s_wait_dscnt 0x0
	v_max_num_f32_e32 v1, v1, v1
	s_delay_alu instid0(VALU_DEP_1)
	v_readfirstlane_b32 s6, v1
	s_max_num_f32 s3, s3, s6
	s_cbranch_scc0 .LBB33_20
.LBB33_21:
	s_cmp_lt_i32 s10, 1
	s_cbranch_scc1 .LBB33_26
; %bb.22:
	s_lshl_b32 s0, s2, 8
	s_delay_alu instid0(SALU_CYCLE_1) | instskip(NEXT) | instid1(SALU_CYCLE_1)
	s_ashr_i32 s1, s0, 31
	s_lshl_b64 s[0:1], s[0:1], 2
	s_cmp_lt_u32 s10, 8
	s_add_nc_u64 s[0:1], s[4:5], s[0:1]
	s_cbranch_scc1 .LBB33_27
; %bb.23:
	v_mov_b32_e32 v2, 0
	v_or_b32_e32 v1, 0x700, v0
	s_and_b32 s2, s10, 0x7ffffff8
	s_mov_b32 s4, 0
	s_mov_b32 s5, 0
	v_mov_b32_e32 v3, v2
.LBB33_24:                              ; =>This Inner Loop Header: Depth=1
	v_add_nc_u32_e32 v4, 0xfffff900, v1
	v_dual_mov_b32 v16, s5 :: v_dual_add_nc_u32 v5, 0xfffffa00, v1
	s_clause 0x1
	global_load_b32 v21, v4, s[0:1] scale_offset
	global_load_b32 v23, v5, s[0:1] scale_offset
	s_wait_xcnt 0x1
	v_add_nc_u32_e32 v4, 0xfffffb00, v1
	s_wait_xcnt 0x0
	v_add_nc_u32_e32 v5, 0xfffffc00, v1
	s_clause 0x1
	global_load_b32 v25, v4, s[0:1] scale_offset
	global_load_b32 v27, v5, s[0:1] scale_offset
	s_wait_xcnt 0x1
	v_add_nc_u32_e32 v4, 0xfffffd00, v1
	s_wait_xcnt 0x0
	v_add_nc_u32_e32 v5, 0xfffffe00, v1
	global_load_b32 v29, v4, s[0:1] scale_offset
	s_wait_xcnt 0x0
	v_add_nc_u32_e32 v4, 0xffffff00, v1
	s_clause 0x2
	global_load_b32 v31, v5, s[0:1] scale_offset
	global_load_b32 v33, v4, s[0:1] scale_offset
	;; [unrolled: 1-line block ×3, first 2 shown]
	s_wait_xcnt 0x1
	ds_load_2addr_b64 v[4:7], v16 offset1:1
	ds_load_2addr_b64 v[8:11], v16 offset0:2 offset1:3
	ds_load_2addr_b64 v[12:15], v16 offset0:4 offset1:5
	;; [unrolled: 1-line block ×3, first 2 shown]
	s_wait_xcnt 0x0
	v_add_nc_u32_e32 v1, 0x800, v1
	s_wait_dscnt 0x3
	v_readfirstlane_b32 s6, v4
	v_readfirstlane_b32 s7, v6
	s_wait_dscnt 0x2
	v_readfirstlane_b32 s12, v8
	v_dual_mov_b32 v20, v5 :: v_dual_mov_b32 v26, v11
	s_sub_f32 s6, s6, s3
	s_sub_f32 s7, s7, s3
	s_sub_f32 s12, s12, s3
	v_readfirstlane_b32 s13, v10
	s_mul_f32 s18, s6, 0x3fb8aa3b
	s_mul_f32 s19, s7, 0x3fb8aa3b
	;; [unrolled: 1-line block ×3, first 2 shown]
	s_wait_dscnt 0x1
	v_readfirstlane_b32 s14, v12
	s_xor_b32 s26, s18, 0x80000000
	s_rndne_f32 s27, s18
	s_fmamk_f32 s26, s6, 0x3fb8aa3b, s26
	s_cmp_nlt_f32 s6, 0xc2ce8ed0
	s_rndne_f32 s28, s19
	s_sub_f32 s18, s18, s27
	s_fmamk_f32 s26, s6, 0x32a5705f, s26
	s_cvt_i32_f32 s27, s27
	s_cselect_b32 vcc_lo, -1, 0
	s_cmp_ngt_f32 s6, 0x42b17218
	s_add_f32 s18, s18, s26
	s_sub_f32 s36, s19, s28
	s_cvt_i32_f32 s28, s28
	s_rndne_f32 s29, s20
	v_s_exp_f32 s18, s18
	s_sub_f32 s13, s13, s3
	s_sub_f32 s14, s14, s3
	s_sub_f32 s37, s20, s29
	s_cvt_i32_f32 s29, s29
	s_mul_f32 s21, s13, 0x3fb8aa3b
	s_mul_f32 s22, s14, 0x3fb8aa3b
	v_readfirstlane_b32 s15, v14
	v_ldexp_f32 v4, s18, s27
	s_wait_dscnt 0x0
	v_mov_b32_e32 v32, v17
	s_rndne_f32 s30, s21
	s_rndne_f32 s31, s22
	s_sub_f32 s15, s15, s3
	v_cndmask_b32_e32 v4, 0, v4, vcc_lo
	s_cselect_b32 vcc_lo, -1, 0
	s_xor_b32 s6, s19, 0x80000000
	s_cmp_nlt_f32 s7, 0xc2ce8ed0
	s_fmamk_f32 s6, s7, 0x3fb8aa3b, s6
	v_cndmask_b32_e32 v4, 0x7f800000, v4, vcc_lo
	s_sub_f32 s38, s21, s30
	s_cselect_b32 vcc_lo, -1, 0
	s_fmamk_f32 s6, s7, 0x32a5705f, s6
	s_cmp_ngt_f32 s7, 0x42b17218
	s_cvt_i32_f32 s30, s30
	s_sub_f32 s39, s22, s31
	s_add_f32 s6, s36, s6
	s_cvt_i32_f32 s31, s31
	s_mul_f32 s23, s15, 0x3fb8aa3b
	v_readfirstlane_b32 s16, v16
	v_s_exp_f32 s6, s6
	v_readfirstlane_b32 s17, v18
	s_rndne_f32 s33, s23
	v_mov_b32_e32 v22, v7
	s_sub_f32 s16, s16, s3
	v_mov_b32_e32 v34, v19
	s_sub_f32 s40, s23, s33
	s_cvt_i32_f32 s33, s33
	v_ldexp_f32 v5, s6, s28
	s_mul_f32 s24, s16, 0x3fb8aa3b
	s_sub_f32 s17, s17, s3
	v_dual_mov_b32 v24, v9 :: v_dual_mov_b32 v28, v13
	s_delay_alu instid0(VALU_DEP_2)
	v_dual_mov_b32 v30, v15 :: v_dual_cndmask_b32 v5, 0, v5
	s_cselect_b32 vcc_lo, -1, 0
	s_xor_b32 s6, s20, 0x80000000
	s_cmp_nlt_f32 s12, 0xc2ce8ed0
	s_fmamk_f32 s6, s12, 0x3fb8aa3b, s6
	v_cndmask_b32_e32 v6, 0x7f800000, v5, vcc_lo
	s_rndne_f32 s34, s24
	s_cselect_b32 vcc_lo, -1, 0
	s_fmamk_f32 s6, s12, 0x32a5705f, s6
	s_cmp_ngt_f32 s12, 0x42b17218
	s_sub_f32 s41, s24, s34
	s_cvt_i32_f32 s34, s34
	s_add_f32 s6, s37, s6
	s_mul_f32 s25, s17, 0x3fb8aa3b
	s_delay_alu instid0(SALU_CYCLE_2) | instskip(NEXT) | instid1(SALU_CYCLE_2)
	v_s_exp_f32 s6, s6
	s_rndne_f32 s35, s25
	s_delay_alu instid0(SALU_CYCLE_3) | instskip(SKIP_2) | instid1(TRANS32_DEP_1)
	s_sub_f32 s42, s25, s35
	s_cvt_i32_f32 s35, s35
	v_nop
	v_ldexp_f32 v5, s6, s29
	s_delay_alu instid0(VALU_DEP_1)
	v_cndmask_b32_e32 v5, 0, v5, vcc_lo
	s_cselect_b32 vcc_lo, -1, 0
	s_xor_b32 s6, s21, 0x80000000
	s_cmp_nlt_f32 s13, 0xc2ce8ed0
	s_fmamk_f32 s6, s13, 0x3fb8aa3b, s6
	v_cndmask_b32_e32 v8, 0x7f800000, v5, vcc_lo
	s_cselect_b32 vcc_lo, -1, 0
	s_delay_alu instid0(SALU_CYCLE_1) | instskip(SKIP_1) | instid1(SALU_CYCLE_2)
	s_fmamk_f32 s6, s13, 0x32a5705f, s6
	s_cmp_ngt_f32 s13, 0x42b17218
	s_add_f32 s6, s38, s6
	s_delay_alu instid0(SALU_CYCLE_3) | instskip(SKIP_1) | instid1(TRANS32_DEP_1)
	v_s_exp_f32 s6, s6
	v_nop
	v_ldexp_f32 v5, s6, s30
	s_delay_alu instid0(VALU_DEP_1)
	v_cndmask_b32_e32 v5, 0, v5, vcc_lo
	s_cselect_b32 vcc_lo, -1, 0
	s_xor_b32 s6, s22, 0x80000000
	s_cmp_nlt_f32 s14, 0xc2ce8ed0
	s_fmamk_f32 s6, s14, 0x3fb8aa3b, s6
	v_cndmask_b32_e32 v10, 0x7f800000, v5, vcc_lo
	s_cselect_b32 vcc_lo, -1, 0
	s_delay_alu instid0(SALU_CYCLE_1) | instskip(SKIP_1) | instid1(SALU_CYCLE_2)
	s_fmamk_f32 s6, s14, 0x32a5705f, s6
	s_cmp_ngt_f32 s14, 0x42b17218
	s_add_f32 s6, s39, s6
	s_delay_alu instid0(SALU_CYCLE_3) | instskip(SKIP_1) | instid1(TRANS32_DEP_1)
	v_s_exp_f32 s6, s6
	;; [unrolled: 16-line block ×4, first 2 shown]
	v_nop
	v_ldexp_f32 v5, s6, s34
	s_delay_alu instid0(VALU_DEP_1) | instskip(SKIP_4) | instid1(SALU_CYCLE_3)
	v_cndmask_b32_e32 v5, 0, v5, vcc_lo
	s_cselect_b32 vcc_lo, -1, 0
	s_xor_b32 s6, s25, 0x80000000
	s_cmp_nlt_f32 s17, 0xc2ce8ed0
	s_fmamk_f32 s6, s17, 0x3fb8aa3b, s6
	s_fmamk_f32 s6, s17, 0x32a5705f, s6
	s_delay_alu instid0(SALU_CYCLE_3) | instskip(NEXT) | instid1(SALU_CYCLE_3)
	s_add_f32 s6, s42, s6
	v_s_exp_f32 s6, s6
	s_wait_loadcnt 0x7
	v_pk_fma_f32 v[2:3], v[4:5], v[20:21], v[2:3] op_sel_hi:[0,1,1]
	v_cndmask_b32_e32 v4, 0x7f800000, v5, vcc_lo
	s_delay_alu instid0(TRANS32_DEP_1)
	v_ldexp_f32 v5, s6, s35
	s_cselect_b32 vcc_lo, -1, 0
	s_cmp_ngt_f32 s17, 0x42b17218
	s_wait_loadcnt 0x6
	v_pk_fma_f32 v[2:3], v[6:7], v[22:23], v[2:3] op_sel_hi:[0,1,1]
	v_cndmask_b32_e32 v5, 0, v5, vcc_lo
	s_cselect_b32 vcc_lo, -1, 0
	s_add_co_i32 s4, s4, 8
	s_wait_loadcnt 0x5
	v_pk_fma_f32 v[2:3], v[8:9], v[24:25], v[2:3] op_sel_hi:[0,1,1]
	s_add_co_i32 s5, s5, 64
	v_cndmask_b32_e32 v6, 0x7f800000, v5, vcc_lo
	s_cmp_eq_u32 s2, s4
	s_wait_loadcnt 0x4
	v_pk_fma_f32 v[2:3], v[10:11], v[26:27], v[2:3] op_sel_hi:[0,1,1]
	s_wait_loadcnt 0x3
	s_delay_alu instid0(VALU_DEP_1) | instskip(SKIP_1) | instid1(VALU_DEP_1)
	v_pk_fma_f32 v[2:3], v[12:13], v[28:29], v[2:3] op_sel_hi:[0,1,1]
	s_wait_loadcnt 0x2
	v_pk_fma_f32 v[2:3], v[14:15], v[30:31], v[2:3] op_sel_hi:[0,1,1]
	s_wait_loadcnt 0x1
	s_delay_alu instid0(VALU_DEP_1) | instskip(SKIP_1) | instid1(VALU_DEP_1)
	v_pk_fma_f32 v[2:3], v[4:5], v[32:33], v[2:3] op_sel_hi:[0,1,1]
	s_wait_loadcnt 0x0
	v_pk_fma_f32 v[2:3], v[6:7], v[34:35], v[2:3] op_sel_hi:[0,1,1]
	s_cbranch_scc0 .LBB33_24
; %bb.25:
	s_and_b32 s4, s10, 7
	s_delay_alu instid0(SALU_CYCLE_1)
	s_cmp_eq_u32 s4, 0
	s_cbranch_scc0 .LBB33_28
	s_branch .LBB33_30
.LBB33_26:
	v_mov_b32_e32 v1, 0x7fc00000
	s_branch .LBB33_31
.LBB33_27:
	v_mov_b64_e32 v[2:3], 0
	s_mov_b32 s2, 0
	s_and_b32 s4, s10, 7
	s_delay_alu instid0(SALU_CYCLE_1)
	s_cmp_eq_u32 s4, 0
	s_cbranch_scc1 .LBB33_30
.LBB33_28:
	v_lshl_or_b32 v1, s2, 8, v0
	s_lshl_b32 s2, s2, 3
	s_delay_alu instid0(SALU_CYCLE_1)
	s_add_co_i32 s2, s2, 0
.LBB33_29:                              ; =>This Inner Loop Header: Depth=1
	global_load_b32 v5, v1, s[0:1] scale_offset
	s_wait_xcnt 0x0
	v_dual_mov_b32 v4, s2 :: v_dual_add_nc_u32 v1, 0x100, v1
	ds_load_b64 v[6:7], v4
	s_wait_dscnt 0x0
	v_readfirstlane_b32 s5, v6
	s_sub_f32 s5, s5, s3
	s_delay_alu instid0(SALU_CYCLE_3) | instskip(NEXT) | instid1(SALU_CYCLE_3)
	s_mul_f32 s6, s5, 0x3fb8aa3b
	s_xor_b32 s7, s6, 0x80000000
	s_rndne_f32 s10, s6
	s_fmamk_f32 s7, s5, 0x3fb8aa3b, s7
	s_cmp_nlt_f32 s5, 0xc2ce8ed0
	s_delay_alu instid0(SALU_CYCLE_1) | instskip(NEXT) | instid1(SALU_CYCLE_1)
	s_sub_f32 s6, s6, s10
	s_fmamk_f32 s7, s5, 0x32a5705f, s7
	s_cselect_b32 vcc_lo, -1, 0
	s_cmp_ngt_f32 s5, 0x42b17218
	s_delay_alu instid0(SALU_CYCLE_1) | instskip(SKIP_1) | instid1(SALU_CYCLE_2)
	s_add_f32 s6, s6, s7
	s_cvt_i32_f32 s7, s10
	v_s_exp_f32 s6, s6
	v_nop
	s_delay_alu instid0(TRANS32_DEP_1) | instid1(SALU_CYCLE_1)
	v_ldexp_f32 v4, s6, s7
	s_delay_alu instid0(VALU_DEP_1) | instskip(SKIP_3) | instid1(VALU_DEP_1)
	v_dual_cndmask_b32 v6, 0, v4, vcc_lo :: v_dual_mov_b32 v4, v7
	s_cselect_b32 vcc_lo, -1, 0
	s_add_co_i32 s4, s4, -1
	s_add_co_i32 s2, s2, 8
	v_cndmask_b32_e32 v6, 0x7f800000, v6, vcc_lo
	s_cmp_lg_u32 s4, 0
	s_wait_loadcnt 0x0
	s_delay_alu instid0(VALU_DEP_1)
	v_pk_fma_f32 v[2:3], v[6:7], v[4:5], v[2:3] op_sel_hi:[0,1,1]
	s_cbranch_scc1 .LBB33_29
.LBB33_30:
	s_delay_alu instid0(VALU_DEP_1) | instskip(NEXT) | instid1(VALU_DEP_1)
	v_div_scale_f32 v1, null, v2, v2, v3
	v_rcp_f32_e32 v4, v1
	v_nop
	s_delay_alu instid0(TRANS32_DEP_1) | instskip(NEXT) | instid1(VALU_DEP_1)
	v_fma_f32 v5, -v1, v4, 1.0
	v_fmac_f32_e32 v4, v5, v4
	v_div_scale_f32 v5, vcc_lo, v3, v2, v3
	s_delay_alu instid0(VALU_DEP_1) | instskip(NEXT) | instid1(VALU_DEP_1)
	v_mul_f32_e32 v6, v5, v4
	v_fma_f32 v7, -v1, v6, v5
	s_delay_alu instid0(VALU_DEP_1) | instskip(NEXT) | instid1(VALU_DEP_1)
	v_fmac_f32_e32 v6, v7, v4
	v_fma_f32 v1, -v1, v6, v5
	s_delay_alu instid0(VALU_DEP_1) | instskip(NEXT) | instid1(VALU_DEP_1)
	v_div_fmas_f32 v1, v1, v4, v6
	v_div_fixup_f32 v1, v1, v2, v3
.LBB33_31:
	s_lshl_b32 s0, s11, 8
	s_delay_alu instid0(SALU_CYCLE_1) | instskip(NEXT) | instid1(SALU_CYCLE_1)
	s_ashr_i32 s1, s0, 31
	s_lshl_b64 s[0:1], s[0:1], 2
	s_delay_alu instid0(SALU_CYCLE_1)
	s_add_nc_u64 s[0:1], s[8:9], s[0:1]
	global_store_b32 v0, v1, s[0:1] scale_offset
	s_endpgm
	.section	.rodata,"a",@progbits
	.p2align	6, 0x0
	.amdhsa_kernel _ZL26flash_attn_combine_resultsILi256EEvPKfPK15HIP_vector_typeIfLj2EEPfi
		.amdhsa_group_segment_fixed_size 0
		.amdhsa_private_segment_fixed_size 0
		.amdhsa_kernarg_size 288
		.amdhsa_user_sgpr_count 2
		.amdhsa_user_sgpr_dispatch_ptr 0
		.amdhsa_user_sgpr_queue_ptr 0
		.amdhsa_user_sgpr_kernarg_segment_ptr 1
		.amdhsa_user_sgpr_dispatch_id 0
		.amdhsa_user_sgpr_kernarg_preload_length 0
		.amdhsa_user_sgpr_kernarg_preload_offset 0
		.amdhsa_user_sgpr_private_segment_size 0
		.amdhsa_wavefront_size32 1
		.amdhsa_uses_dynamic_stack 0
		.amdhsa_enable_private_segment 0
		.amdhsa_system_sgpr_workgroup_id_x 1
		.amdhsa_system_sgpr_workgroup_id_y 1
		.amdhsa_system_sgpr_workgroup_id_z 1
		.amdhsa_system_sgpr_workgroup_info 0
		.amdhsa_system_vgpr_workitem_id 0
		.amdhsa_next_free_vgpr 36
		.amdhsa_next_free_sgpr 43
		.amdhsa_named_barrier_count 0
		.amdhsa_reserve_vcc 1
		.amdhsa_float_round_mode_32 0
		.amdhsa_float_round_mode_16_64 0
		.amdhsa_float_denorm_mode_32 3
		.amdhsa_float_denorm_mode_16_64 3
		.amdhsa_fp16_overflow 0
		.amdhsa_memory_ordered 1
		.amdhsa_forward_progress 1
		.amdhsa_inst_pref_size 29
		.amdhsa_round_robin_scheduling 0
		.amdhsa_exception_fp_ieee_invalid_op 0
		.amdhsa_exception_fp_denorm_src 0
		.amdhsa_exception_fp_ieee_div_zero 0
		.amdhsa_exception_fp_ieee_overflow 0
		.amdhsa_exception_fp_ieee_underflow 0
		.amdhsa_exception_fp_ieee_inexact 0
		.amdhsa_exception_int_div_zero 0
	.end_amdhsa_kernel
	.section	.text._ZL26flash_attn_combine_resultsILi256EEvPKfPK15HIP_vector_typeIfLj2EEPfi,"axG",@progbits,_ZL26flash_attn_combine_resultsILi256EEvPKfPK15HIP_vector_typeIfLj2EEPfi,comdat
.Lfunc_end33:
	.size	_ZL26flash_attn_combine_resultsILi256EEvPKfPK15HIP_vector_typeIfLj2EEPfi, .Lfunc_end33-_ZL26flash_attn_combine_resultsILi256EEvPKfPK15HIP_vector_typeIfLj2EEPfi
                                        ; -- End function
	.set _ZL26flash_attn_combine_resultsILi256EEvPKfPK15HIP_vector_typeIfLj2EEPfi.num_vgpr, 36
	.set _ZL26flash_attn_combine_resultsILi256EEvPKfPK15HIP_vector_typeIfLj2EEPfi.num_agpr, 0
	.set _ZL26flash_attn_combine_resultsILi256EEvPKfPK15HIP_vector_typeIfLj2EEPfi.numbered_sgpr, 43
	.set _ZL26flash_attn_combine_resultsILi256EEvPKfPK15HIP_vector_typeIfLj2EEPfi.num_named_barrier, 0
	.set _ZL26flash_attn_combine_resultsILi256EEvPKfPK15HIP_vector_typeIfLj2EEPfi.private_seg_size, 0
	.set _ZL26flash_attn_combine_resultsILi256EEvPKfPK15HIP_vector_typeIfLj2EEPfi.uses_vcc, 1
	.set _ZL26flash_attn_combine_resultsILi256EEvPKfPK15HIP_vector_typeIfLj2EEPfi.uses_flat_scratch, 0
	.set _ZL26flash_attn_combine_resultsILi256EEvPKfPK15HIP_vector_typeIfLj2EEPfi.has_dyn_sized_stack, 0
	.set _ZL26flash_attn_combine_resultsILi256EEvPKfPK15HIP_vector_typeIfLj2EEPfi.has_recursion, 0
	.set _ZL26flash_attn_combine_resultsILi256EEvPKfPK15HIP_vector_typeIfLj2EEPfi.has_indirect_call, 0
	.section	.AMDGPU.csdata,"",@progbits
; Kernel info:
; codeLenInByte = 3596
; TotalNumSgprs: 45
; NumVgprs: 36
; ScratchSize: 0
; MemoryBound: 0
; FloatMode: 240
; IeeeMode: 1
; LDSByteSize: 0 bytes/workgroup (compile time only)
; SGPRBlocks: 0
; VGPRBlocks: 2
; NumSGPRsForWavesPerEU: 45
; NumVGPRsForWavesPerEU: 36
; NamedBarCnt: 0
; Occupancy: 16
; WaveLimiterHint : 0
; COMPUTE_PGM_RSRC2:SCRATCH_EN: 0
; COMPUTE_PGM_RSRC2:USER_SGPR: 2
; COMPUTE_PGM_RSRC2:TRAP_HANDLER: 0
; COMPUTE_PGM_RSRC2:TGID_X_EN: 1
; COMPUTE_PGM_RSRC2:TGID_Y_EN: 1
; COMPUTE_PGM_RSRC2:TGID_Z_EN: 1
; COMPUTE_PGM_RSRC2:TIDIG_COMP_CNT: 0
	.text
	.p2alignl 7, 3214868480
	.fill 96, 4, 3214868480
	.section	.AMDGPU.gpr_maximums,"",@progbits
	.set amdgpu.max_num_vgpr, 50
	.set amdgpu.max_num_agpr, 0
	.set amdgpu.max_num_sgpr, 34
	.text
	.type	.str,@object                    ; @.str
	.section	.rodata.str1.1,"aMS",@progbits,1
.str:
	.asciz	"/root/src/amdgpu-assembly/repos/ggml-org__llama.cpp/ggml/src/ggml-cuda/template-instances/../fattn-mma-f16.cuh"
	.size	.str, 111

	.type	__FUNCTION__._ZL18flash_attn_ext_f16ILi64ELi64ELi32ELi1ELb0ELb0EEvPKcS1_S1_S1_S1_PKiPfP15HIP_vector_typeIfLj2EEffffjfiS5_IjLj3EEiiiiiiiiiiiliiliiiiil,@object ; @__FUNCTION__._ZL18flash_attn_ext_f16ILi64ELi64ELi32ELi1ELb0ELb0EEvPKcS1_S1_S1_S1_PKiPfP15HIP_vector_typeIfLj2EEffffjfiS5_IjLj3EEiiiiiiiiiiiliiliiiiil
__FUNCTION__._ZL18flash_attn_ext_f16ILi64ELi64ELi32ELi1ELb0ELb0EEvPKcS1_S1_S1_S1_PKiPfP15HIP_vector_typeIfLj2EEffffjfiS5_IjLj3EEiiiiiiiiiiiliiliiiiil:
	.asciz	"flash_attn_ext_f16"
	.size	__FUNCTION__._ZL18flash_attn_ext_f16ILi64ELi64ELi32ELi1ELb0ELb0EEvPKcS1_S1_S1_S1_PKiPfP15HIP_vector_typeIfLj2EEffffjfiS5_IjLj3EEiiiiiiiiiiiliiliiiiil, 19

	.type	.str.2,@object                  ; @.str.2
.str.2:
	.asciz	"%s:%d: ERROR: HIP kernel %s has no device code compatible with HIP arch %d.\n"
	.size	.str.2, 77

	.type	__hip_cuid_7f2dea2517e9b4e0,@object ; @__hip_cuid_7f2dea2517e9b4e0
	.section	.bss,"aw",@nobits
	.globl	__hip_cuid_7f2dea2517e9b4e0
__hip_cuid_7f2dea2517e9b4e0:
	.byte	0                               ; 0x0
	.size	__hip_cuid_7f2dea2517e9b4e0, 1

	.ident	"AMD clang version 22.0.0git (https://github.com/RadeonOpenCompute/llvm-project roc-7.2.4 26084 f58b06dce1f9c15707c5f808fd002e18c2accf7e)"
	.section	".note.GNU-stack","",@progbits
	.addrsig
	.addrsig_sym __hip_cuid_7f2dea2517e9b4e0
	.amdgpu_metadata
---
amdhsa.kernels:
  - .args:
      - .address_space:  global
        .offset:         0
        .size:           8
        .value_kind:     global_buffer
      - .address_space:  global
        .offset:         8
        .size:           8
        .value_kind:     global_buffer
      - .address_space:  global
        .offset:         16
        .size:           8
        .value_kind:     global_buffer
      - .address_space:  global
        .offset:         24
        .size:           8
        .value_kind:     global_buffer
      - .address_space:  global
        .offset:         32
        .size:           8
        .value_kind:     global_buffer
      - .address_space:  global
        .offset:         40
        .size:           8
        .value_kind:     global_buffer
      - .address_space:  global
        .offset:         48
        .size:           8
        .value_kind:     global_buffer
      - .address_space:  global
        .offset:         56
        .size:           8
        .value_kind:     global_buffer
      - .offset:         64
        .size:           4
        .value_kind:     by_value
      - .offset:         68
        .size:           4
        .value_kind:     by_value
      - .offset:         72
        .size:           4
        .value_kind:     by_value
      - .offset:         76
        .size:           4
        .value_kind:     by_value
      - .offset:         80
        .size:           4
        .value_kind:     by_value
      - .offset:         84
        .size:           4
        .value_kind:     by_value
      - .offset:         88
        .size:           4
        .value_kind:     by_value
      - .offset:         92
        .size:           12
        .value_kind:     by_value
      - .offset:         104
        .size:           4
        .value_kind:     by_value
      - .offset:         108
        .size:           4
        .value_kind:     by_value
      - .offset:         112
        .size:           4
        .value_kind:     by_value
      - .offset:         116
        .size:           4
        .value_kind:     by_value
      - .offset:         120
        .size:           4
        .value_kind:     by_value
      - .offset:         124
        .size:           4
        .value_kind:     by_value
      - .offset:         128
        .size:           4
        .value_kind:     by_value
      - .offset:         132
        .size:           4
        .value_kind:     by_value
      - .offset:         136
        .size:           4
        .value_kind:     by_value
      - .offset:         140
        .size:           4
        .value_kind:     by_value
      - .offset:         144
        .size:           4
        .value_kind:     by_value
      - .offset:         152
        .size:           8
        .value_kind:     by_value
      - .offset:         160
        .size:           4
        .value_kind:     by_value
      - .offset:         164
        .size:           4
        .value_kind:     by_value
      - .offset:         168
        .size:           8
        .value_kind:     by_value
      - .offset:         176
        .size:           4
        .value_kind:     by_value
      - .offset:         180
        .size:           4
        .value_kind:     by_value
      - .offset:         184
        .size:           4
        .value_kind:     by_value
      - .offset:         188
        .size:           4
        .value_kind:     by_value
      - .offset:         192
        .size:           4
        .value_kind:     by_value
      - .offset:         200
        .size:           8
        .value_kind:     by_value
      - .offset:         208
        .size:           4
        .value_kind:     hidden_block_count_x
      - .offset:         212
        .size:           4
        .value_kind:     hidden_block_count_y
      - .offset:         216
        .size:           4
        .value_kind:     hidden_block_count_z
      - .offset:         220
        .size:           2
        .value_kind:     hidden_group_size_x
      - .offset:         222
        .size:           2
        .value_kind:     hidden_group_size_y
      - .offset:         224
        .size:           2
        .value_kind:     hidden_group_size_z
      - .offset:         226
        .size:           2
        .value_kind:     hidden_remainder_x
      - .offset:         228
        .size:           2
        .value_kind:     hidden_remainder_y
      - .offset:         230
        .size:           2
        .value_kind:     hidden_remainder_z
      - .offset:         248
        .size:           8
        .value_kind:     hidden_global_offset_x
      - .offset:         256
        .size:           8
        .value_kind:     hidden_global_offset_y
      - .offset:         264
        .size:           8
        .value_kind:     hidden_global_offset_z
      - .offset:         272
        .size:           2
        .value_kind:     hidden_grid_dims
      - .offset:         288
        .size:           8
        .value_kind:     hidden_hostcall_buffer
    .group_segment_fixed_size: 0
    .kernarg_segment_align: 8
    .kernarg_segment_size: 464
    .language:       OpenCL C
    .language_version:
      - 2
      - 0
    .max_flat_workgroup_size: 128
    .name:           _ZL18flash_attn_ext_f16ILi64ELi64ELi32ELi1ELb0ELb0EEvPKcS1_S1_S1_S1_PKiPfP15HIP_vector_typeIfLj2EEffffjfiS5_IjLj3EEiiiiiiiiiiiliiliiiiil
    .private_segment_fixed_size: 16
    .sgpr_count:     36
    .sgpr_spill_count: 0
    .symbol:         _ZL18flash_attn_ext_f16ILi64ELi64ELi32ELi1ELb0ELb0EEvPKcS1_S1_S1_S1_PKiPfP15HIP_vector_typeIfLj2EEffffjfiS5_IjLj3EEiiiiiiiiiiiliiliiiiil.kd
    .uniform_work_group_size: 1
    .uses_dynamic_stack: false
    .vgpr_count:     50
    .vgpr_spill_count: 0
    .wavefront_size: 32
  - .args:
      - .address_space:  global
        .offset:         0
        .size:           8
        .value_kind:     global_buffer
      - .address_space:  global
        .offset:         8
        .size:           8
        .value_kind:     global_buffer
      - .address_space:  global
        .offset:         16
        .size:           8
        .value_kind:     global_buffer
      - .address_space:  global
        .offset:         24
        .size:           8
        .value_kind:     global_buffer
      - .address_space:  global
        .offset:         32
        .size:           8
        .value_kind:     global_buffer
      - .address_space:  global
        .offset:         40
        .size:           8
        .value_kind:     global_buffer
      - .address_space:  global
        .offset:         48
        .size:           8
        .value_kind:     global_buffer
      - .address_space:  global
        .offset:         56
        .size:           8
        .value_kind:     global_buffer
      - .offset:         64
        .size:           4
        .value_kind:     by_value
      - .offset:         68
        .size:           4
        .value_kind:     by_value
      - .offset:         72
        .size:           4
        .value_kind:     by_value
      - .offset:         76
        .size:           4
        .value_kind:     by_value
      - .offset:         80
        .size:           4
        .value_kind:     by_value
      - .offset:         84
        .size:           4
        .value_kind:     by_value
      - .offset:         88
        .size:           4
        .value_kind:     by_value
      - .offset:         92
        .size:           12
        .value_kind:     by_value
      - .offset:         104
        .size:           4
        .value_kind:     by_value
      - .offset:         108
        .size:           4
        .value_kind:     by_value
      - .offset:         112
        .size:           4
        .value_kind:     by_value
      - .offset:         116
        .size:           4
        .value_kind:     by_value
      - .offset:         120
        .size:           4
        .value_kind:     by_value
      - .offset:         124
        .size:           4
        .value_kind:     by_value
      - .offset:         128
        .size:           4
        .value_kind:     by_value
      - .offset:         132
        .size:           4
        .value_kind:     by_value
      - .offset:         136
        .size:           4
        .value_kind:     by_value
      - .offset:         140
        .size:           4
        .value_kind:     by_value
      - .offset:         144
        .size:           4
        .value_kind:     by_value
      - .offset:         152
        .size:           8
        .value_kind:     by_value
      - .offset:         160
        .size:           4
        .value_kind:     by_value
      - .offset:         164
        .size:           4
        .value_kind:     by_value
      - .offset:         168
        .size:           8
        .value_kind:     by_value
      - .offset:         176
        .size:           4
        .value_kind:     by_value
      - .offset:         180
        .size:           4
        .value_kind:     by_value
      - .offset:         184
        .size:           4
        .value_kind:     by_value
      - .offset:         188
        .size:           4
        .value_kind:     by_value
      - .offset:         192
        .size:           4
        .value_kind:     by_value
      - .offset:         200
        .size:           8
        .value_kind:     by_value
      - .offset:         208
        .size:           4
        .value_kind:     hidden_block_count_x
      - .offset:         212
        .size:           4
        .value_kind:     hidden_block_count_y
      - .offset:         216
        .size:           4
        .value_kind:     hidden_block_count_z
      - .offset:         220
        .size:           2
        .value_kind:     hidden_group_size_x
      - .offset:         222
        .size:           2
        .value_kind:     hidden_group_size_y
      - .offset:         224
        .size:           2
        .value_kind:     hidden_group_size_z
      - .offset:         226
        .size:           2
        .value_kind:     hidden_remainder_x
      - .offset:         228
        .size:           2
        .value_kind:     hidden_remainder_y
      - .offset:         230
        .size:           2
        .value_kind:     hidden_remainder_z
      - .offset:         248
        .size:           8
        .value_kind:     hidden_global_offset_x
      - .offset:         256
        .size:           8
        .value_kind:     hidden_global_offset_y
      - .offset:         264
        .size:           8
        .value_kind:     hidden_global_offset_z
      - .offset:         272
        .size:           2
        .value_kind:     hidden_grid_dims
      - .offset:         288
        .size:           8
        .value_kind:     hidden_hostcall_buffer
    .group_segment_fixed_size: 0
    .kernarg_segment_align: 8
    .kernarg_segment_size: 464
    .language:       OpenCL C
    .language_version:
      - 2
      - 0
    .max_flat_workgroup_size: 128
    .name:           _ZL18flash_attn_ext_f16ILi64ELi64ELi32ELi1ELb1ELb0EEvPKcS1_S1_S1_S1_PKiPfP15HIP_vector_typeIfLj2EEffffjfiS5_IjLj3EEiiiiiiiiiiiliiliiiiil
    .private_segment_fixed_size: 16
    .sgpr_count:     36
    .sgpr_spill_count: 0
    .symbol:         _ZL18flash_attn_ext_f16ILi64ELi64ELi32ELi1ELb1ELb0EEvPKcS1_S1_S1_S1_PKiPfP15HIP_vector_typeIfLj2EEffffjfiS5_IjLj3EEiiiiiiiiiiiliiliiiiil.kd
    .uniform_work_group_size: 1
    .uses_dynamic_stack: false
    .vgpr_count:     50
    .vgpr_spill_count: 0
    .wavefront_size: 32
  - .args:
      - .actual_access:  read_only
        .address_space:  global
        .offset:         0
        .size:           8
        .value_kind:     global_buffer
      - .actual_access:  write_only
        .address_space:  global
        .offset:         8
        .size:           8
        .value_kind:     global_buffer
      - .offset:         16
        .size:           4
        .value_kind:     by_value
      - .offset:         20
        .size:           4
        .value_kind:     by_value
      - .offset:         24
        .size:           4
        .value_kind:     by_value
      - .offset:         32
        .size:           4
        .value_kind:     hidden_block_count_x
      - .offset:         36
        .size:           4
        .value_kind:     hidden_block_count_y
      - .offset:         40
        .size:           4
        .value_kind:     hidden_block_count_z
      - .offset:         44
        .size:           2
        .value_kind:     hidden_group_size_x
      - .offset:         46
        .size:           2
        .value_kind:     hidden_group_size_y
      - .offset:         48
        .size:           2
        .value_kind:     hidden_group_size_z
      - .offset:         50
        .size:           2
        .value_kind:     hidden_remainder_x
      - .offset:         52
        .size:           2
        .value_kind:     hidden_remainder_y
      - .offset:         54
        .size:           2
        .value_kind:     hidden_remainder_z
      - .offset:         72
        .size:           8
        .value_kind:     hidden_global_offset_x
      - .offset:         80
        .size:           8
        .value_kind:     hidden_global_offset_y
      - .offset:         88
        .size:           8
        .value_kind:     hidden_global_offset_z
      - .offset:         96
        .size:           2
        .value_kind:     hidden_grid_dims
    .group_segment_fixed_size: 128
    .kernarg_segment_align: 8
    .kernarg_segment_size: 288
    .language:       OpenCL C
    .language_version:
      - 2
      - 0
    .max_flat_workgroup_size: 128
    .name:           _ZL25flash_attn_mask_to_KV_maxILi32EEvPK7__half2Piiii
    .private_segment_fixed_size: 0
    .sgpr_count:     78
    .sgpr_spill_count: 0
    .symbol:         _ZL25flash_attn_mask_to_KV_maxILi32EEvPK7__half2Piiii.kd
    .uniform_work_group_size: 1
    .uses_dynamic_stack: false
    .vgpr_count:     6
    .vgpr_spill_count: 0
    .wavefront_size: 32
  - .args:
      - .address_space:  global
        .offset:         0
        .size:           8
        .value_kind:     global_buffer
      - .address_space:  global
        .offset:         8
        .size:           8
        .value_kind:     global_buffer
      - .offset:         16
        .size:           4
        .value_kind:     by_value
      - .offset:         20
        .size:           4
        .value_kind:     by_value
      - .offset:         24
        .size:           4
        .value_kind:     by_value
      - .offset:         28
        .size:           4
        .value_kind:     by_value
      - .offset:         32
        .size:           4
        .value_kind:     by_value
      - .offset:         36
        .size:           4
        .value_kind:     by_value
      - .offset:         40
        .size:           12
        .value_kind:     by_value
      - .offset:         52
        .size:           12
        .value_kind:     by_value
      - .offset:         64
        .size:           12
        .value_kind:     by_value
    .group_segment_fixed_size: 0
    .kernarg_segment_align: 8
    .kernarg_segment_size: 76
    .language:       OpenCL C
    .language_version:
      - 2
      - 0
    .max_flat_workgroup_size: 64
    .name:           _ZL33flash_attn_stream_k_fixup_uniformILi64ELi32ELi1EEvPfPK15HIP_vector_typeIfLj2EEiiiiiiS1_IjLj3EES5_S5_
    .private_segment_fixed_size: 0
    .sgpr_count:     23
    .sgpr_spill_count: 0
    .symbol:         _ZL33flash_attn_stream_k_fixup_uniformILi64ELi32ELi1EEvPfPK15HIP_vector_typeIfLj2EEiiiiiiS1_IjLj3EES5_S5_.kd
    .uniform_work_group_size: 1
    .uses_dynamic_stack: false
    .vgpr_count:     12
    .vgpr_spill_count: 0
    .wavefront_size: 32
  - .args:
      - .address_space:  global
        .offset:         0
        .size:           8
        .value_kind:     global_buffer
      - .address_space:  global
        .offset:         8
        .size:           8
        .value_kind:     global_buffer
      - .offset:         16
        .size:           4
        .value_kind:     by_value
      - .offset:         20
        .size:           4
        .value_kind:     by_value
      - .offset:         24
        .size:           4
        .value_kind:     by_value
      - .offset:         28
        .size:           4
        .value_kind:     by_value
      - .offset:         32
        .size:           12
        .value_kind:     by_value
      - .offset:         44
        .size:           12
        .value_kind:     by_value
      - .offset:         56
        .size:           12
        .value_kind:     by_value
      - .offset:         68
        .size:           12
        .value_kind:     by_value
      - .offset:         80
        .size:           4
        .value_kind:     hidden_block_count_x
      - .offset:         84
        .size:           4
        .value_kind:     hidden_block_count_y
      - .offset:         88
        .size:           4
        .value_kind:     hidden_block_count_z
      - .offset:         92
        .size:           2
        .value_kind:     hidden_group_size_x
      - .offset:         94
        .size:           2
        .value_kind:     hidden_group_size_y
      - .offset:         96
        .size:           2
        .value_kind:     hidden_group_size_z
      - .offset:         98
        .size:           2
        .value_kind:     hidden_remainder_x
      - .offset:         100
        .size:           2
        .value_kind:     hidden_remainder_y
      - .offset:         102
        .size:           2
        .value_kind:     hidden_remainder_z
      - .offset:         120
        .size:           8
        .value_kind:     hidden_global_offset_x
      - .offset:         128
        .size:           8
        .value_kind:     hidden_global_offset_y
      - .offset:         136
        .size:           8
        .value_kind:     hidden_global_offset_z
      - .offset:         144
        .size:           2
        .value_kind:     hidden_grid_dims
    .group_segment_fixed_size: 0
    .kernarg_segment_align: 8
    .kernarg_segment_size: 336
    .language:       OpenCL C
    .language_version:
      - 2
      - 0
    .max_flat_workgroup_size: 64
    .name:           _ZL33flash_attn_stream_k_fixup_generalILi64ELi32ELi1EEvPfPK15HIP_vector_typeIfLj2EEiiiiS1_IjLj3EES5_S5_S5_
    .private_segment_fixed_size: 0
    .sgpr_count:     48
    .sgpr_spill_count: 0
    .symbol:         _ZL33flash_attn_stream_k_fixup_generalILi64ELi32ELi1EEvPfPK15HIP_vector_typeIfLj2EEiiiiS1_IjLj3EES5_S5_S5_.kd
    .uniform_work_group_size: 1
    .uses_dynamic_stack: false
    .vgpr_count:     12
    .vgpr_spill_count: 0
    .wavefront_size: 32
  - .args:
      - .address_space:  global
        .offset:         0
        .size:           8
        .value_kind:     global_buffer
      - .address_space:  global
        .offset:         8
        .size:           8
        .value_kind:     global_buffer
      - .address_space:  global
        .offset:         16
        .size:           8
        .value_kind:     global_buffer
      - .offset:         24
        .size:           4
        .value_kind:     by_value
      - .offset:         32
        .size:           4
        .value_kind:     hidden_block_count_x
      - .offset:         36
        .size:           4
        .value_kind:     hidden_block_count_y
      - .offset:         40
        .size:           4
        .value_kind:     hidden_block_count_z
      - .offset:         44
        .size:           2
        .value_kind:     hidden_group_size_x
      - .offset:         46
        .size:           2
        .value_kind:     hidden_group_size_y
      - .offset:         48
        .size:           2
        .value_kind:     hidden_group_size_z
      - .offset:         50
        .size:           2
        .value_kind:     hidden_remainder_x
      - .offset:         52
        .size:           2
        .value_kind:     hidden_remainder_y
      - .offset:         54
        .size:           2
        .value_kind:     hidden_remainder_z
      - .offset:         72
        .size:           8
        .value_kind:     hidden_global_offset_x
      - .offset:         80
        .size:           8
        .value_kind:     hidden_global_offset_y
      - .offset:         88
        .size:           8
        .value_kind:     hidden_global_offset_z
      - .offset:         96
        .size:           2
        .value_kind:     hidden_grid_dims
      - .offset:         152
        .size:           4
        .value_kind:     hidden_dynamic_lds_size
    .group_segment_fixed_size: 0
    .kernarg_segment_align: 8
    .kernarg_segment_size: 288
    .language:       OpenCL C
    .language_version:
      - 2
      - 0
    .max_flat_workgroup_size: 64
    .name:           _ZL26flash_attn_combine_resultsILi64EEvPKfPK15HIP_vector_typeIfLj2EEPfi
    .private_segment_fixed_size: 0
    .sgpr_count:     45
    .sgpr_spill_count: 0
    .symbol:         _ZL26flash_attn_combine_resultsILi64EEvPKfPK15HIP_vector_typeIfLj2EEPfi.kd
    .uniform_work_group_size: 1
    .uses_dynamic_stack: false
    .vgpr_count:     36
    .vgpr_spill_count: 0
    .wavefront_size: 32
  - .args:
      - .address_space:  global
        .offset:         0
        .size:           8
        .value_kind:     global_buffer
      - .address_space:  global
        .offset:         8
        .size:           8
        .value_kind:     global_buffer
      - .address_space:  global
        .offset:         16
        .size:           8
        .value_kind:     global_buffer
      - .address_space:  global
        .offset:         24
        .size:           8
        .value_kind:     global_buffer
      - .address_space:  global
        .offset:         32
        .size:           8
        .value_kind:     global_buffer
      - .address_space:  global
        .offset:         40
        .size:           8
        .value_kind:     global_buffer
      - .address_space:  global
        .offset:         48
        .size:           8
        .value_kind:     global_buffer
      - .address_space:  global
        .offset:         56
        .size:           8
        .value_kind:     global_buffer
      - .offset:         64
        .size:           4
        .value_kind:     by_value
      - .offset:         68
        .size:           4
        .value_kind:     by_value
      - .offset:         72
        .size:           4
        .value_kind:     by_value
      - .offset:         76
        .size:           4
        .value_kind:     by_value
      - .offset:         80
        .size:           4
        .value_kind:     by_value
      - .offset:         84
        .size:           4
        .value_kind:     by_value
      - .offset:         88
        .size:           4
        .value_kind:     by_value
      - .offset:         92
        .size:           12
        .value_kind:     by_value
      - .offset:         104
        .size:           4
        .value_kind:     by_value
      - .offset:         108
        .size:           4
        .value_kind:     by_value
      - .offset:         112
        .size:           4
        .value_kind:     by_value
      - .offset:         116
        .size:           4
        .value_kind:     by_value
      - .offset:         120
        .size:           4
        .value_kind:     by_value
      - .offset:         124
        .size:           4
        .value_kind:     by_value
      - .offset:         128
        .size:           4
        .value_kind:     by_value
      - .offset:         132
        .size:           4
        .value_kind:     by_value
      - .offset:         136
        .size:           4
        .value_kind:     by_value
      - .offset:         140
        .size:           4
        .value_kind:     by_value
      - .offset:         144
        .size:           4
        .value_kind:     by_value
      - .offset:         152
        .size:           8
        .value_kind:     by_value
      - .offset:         160
        .size:           4
        .value_kind:     by_value
      - .offset:         164
        .size:           4
        .value_kind:     by_value
      - .offset:         168
        .size:           8
        .value_kind:     by_value
      - .offset:         176
        .size:           4
        .value_kind:     by_value
      - .offset:         180
        .size:           4
        .value_kind:     by_value
      - .offset:         184
        .size:           4
        .value_kind:     by_value
      - .offset:         188
        .size:           4
        .value_kind:     by_value
      - .offset:         192
        .size:           4
        .value_kind:     by_value
      - .offset:         200
        .size:           8
        .value_kind:     by_value
      - .offset:         208
        .size:           4
        .value_kind:     hidden_block_count_x
      - .offset:         212
        .size:           4
        .value_kind:     hidden_block_count_y
      - .offset:         216
        .size:           4
        .value_kind:     hidden_block_count_z
      - .offset:         220
        .size:           2
        .value_kind:     hidden_group_size_x
      - .offset:         222
        .size:           2
        .value_kind:     hidden_group_size_y
      - .offset:         224
        .size:           2
        .value_kind:     hidden_group_size_z
      - .offset:         226
        .size:           2
        .value_kind:     hidden_remainder_x
      - .offset:         228
        .size:           2
        .value_kind:     hidden_remainder_y
      - .offset:         230
        .size:           2
        .value_kind:     hidden_remainder_z
      - .offset:         248
        .size:           8
        .value_kind:     hidden_global_offset_x
      - .offset:         256
        .size:           8
        .value_kind:     hidden_global_offset_y
      - .offset:         264
        .size:           8
        .value_kind:     hidden_global_offset_z
      - .offset:         272
        .size:           2
        .value_kind:     hidden_grid_dims
      - .offset:         288
        .size:           8
        .value_kind:     hidden_hostcall_buffer
    .group_segment_fixed_size: 0
    .kernarg_segment_align: 8
    .kernarg_segment_size: 464
    .language:       OpenCL C
    .language_version:
      - 2
      - 0
    .max_flat_workgroup_size: 128
    .name:           _ZL18flash_attn_ext_f16ILi80ELi80ELi32ELi1ELb0ELb0EEvPKcS1_S1_S1_S1_PKiPfP15HIP_vector_typeIfLj2EEffffjfiS5_IjLj3EEiiiiiiiiiiiliiliiiiil
    .private_segment_fixed_size: 16
    .sgpr_count:     36
    .sgpr_spill_count: 0
    .symbol:         _ZL18flash_attn_ext_f16ILi80ELi80ELi32ELi1ELb0ELb0EEvPKcS1_S1_S1_S1_PKiPfP15HIP_vector_typeIfLj2EEffffjfiS5_IjLj3EEiiiiiiiiiiiliiliiiiil.kd
    .uniform_work_group_size: 1
    .uses_dynamic_stack: false
    .vgpr_count:     50
    .vgpr_spill_count: 0
    .wavefront_size: 32
  - .args:
      - .address_space:  global
        .offset:         0
        .size:           8
        .value_kind:     global_buffer
      - .address_space:  global
        .offset:         8
        .size:           8
        .value_kind:     global_buffer
      - .address_space:  global
        .offset:         16
        .size:           8
        .value_kind:     global_buffer
      - .address_space:  global
        .offset:         24
        .size:           8
        .value_kind:     global_buffer
      - .address_space:  global
        .offset:         32
        .size:           8
        .value_kind:     global_buffer
      - .address_space:  global
        .offset:         40
        .size:           8
        .value_kind:     global_buffer
      - .address_space:  global
        .offset:         48
        .size:           8
        .value_kind:     global_buffer
      - .address_space:  global
        .offset:         56
        .size:           8
        .value_kind:     global_buffer
      - .offset:         64
        .size:           4
        .value_kind:     by_value
      - .offset:         68
        .size:           4
        .value_kind:     by_value
      - .offset:         72
        .size:           4
        .value_kind:     by_value
      - .offset:         76
        .size:           4
        .value_kind:     by_value
      - .offset:         80
        .size:           4
        .value_kind:     by_value
      - .offset:         84
        .size:           4
        .value_kind:     by_value
      - .offset:         88
        .size:           4
        .value_kind:     by_value
      - .offset:         92
        .size:           12
        .value_kind:     by_value
      - .offset:         104
        .size:           4
        .value_kind:     by_value
      - .offset:         108
        .size:           4
        .value_kind:     by_value
      - .offset:         112
        .size:           4
        .value_kind:     by_value
      - .offset:         116
        .size:           4
        .value_kind:     by_value
      - .offset:         120
        .size:           4
        .value_kind:     by_value
      - .offset:         124
        .size:           4
        .value_kind:     by_value
      - .offset:         128
        .size:           4
        .value_kind:     by_value
      - .offset:         132
        .size:           4
        .value_kind:     by_value
      - .offset:         136
        .size:           4
        .value_kind:     by_value
      - .offset:         140
        .size:           4
        .value_kind:     by_value
      - .offset:         144
        .size:           4
        .value_kind:     by_value
      - .offset:         152
        .size:           8
        .value_kind:     by_value
      - .offset:         160
        .size:           4
        .value_kind:     by_value
      - .offset:         164
        .size:           4
        .value_kind:     by_value
      - .offset:         168
        .size:           8
        .value_kind:     by_value
      - .offset:         176
        .size:           4
        .value_kind:     by_value
      - .offset:         180
        .size:           4
        .value_kind:     by_value
      - .offset:         184
        .size:           4
        .value_kind:     by_value
      - .offset:         188
        .size:           4
        .value_kind:     by_value
      - .offset:         192
        .size:           4
        .value_kind:     by_value
      - .offset:         200
        .size:           8
        .value_kind:     by_value
      - .offset:         208
        .size:           4
        .value_kind:     hidden_block_count_x
      - .offset:         212
        .size:           4
        .value_kind:     hidden_block_count_y
      - .offset:         216
        .size:           4
        .value_kind:     hidden_block_count_z
      - .offset:         220
        .size:           2
        .value_kind:     hidden_group_size_x
      - .offset:         222
        .size:           2
        .value_kind:     hidden_group_size_y
      - .offset:         224
        .size:           2
        .value_kind:     hidden_group_size_z
      - .offset:         226
        .size:           2
        .value_kind:     hidden_remainder_x
      - .offset:         228
        .size:           2
        .value_kind:     hidden_remainder_y
      - .offset:         230
        .size:           2
        .value_kind:     hidden_remainder_z
      - .offset:         248
        .size:           8
        .value_kind:     hidden_global_offset_x
      - .offset:         256
        .size:           8
        .value_kind:     hidden_global_offset_y
      - .offset:         264
        .size:           8
        .value_kind:     hidden_global_offset_z
      - .offset:         272
        .size:           2
        .value_kind:     hidden_grid_dims
      - .offset:         288
        .size:           8
        .value_kind:     hidden_hostcall_buffer
    .group_segment_fixed_size: 0
    .kernarg_segment_align: 8
    .kernarg_segment_size: 464
    .language:       OpenCL C
    .language_version:
      - 2
      - 0
    .max_flat_workgroup_size: 128
    .name:           _ZL18flash_attn_ext_f16ILi80ELi80ELi32ELi1ELb1ELb0EEvPKcS1_S1_S1_S1_PKiPfP15HIP_vector_typeIfLj2EEffffjfiS5_IjLj3EEiiiiiiiiiiiliiliiiiil
    .private_segment_fixed_size: 16
    .sgpr_count:     36
    .sgpr_spill_count: 0
    .symbol:         _ZL18flash_attn_ext_f16ILi80ELi80ELi32ELi1ELb1ELb0EEvPKcS1_S1_S1_S1_PKiPfP15HIP_vector_typeIfLj2EEffffjfiS5_IjLj3EEiiiiiiiiiiiliiliiiiil.kd
    .uniform_work_group_size: 1
    .uses_dynamic_stack: false
    .vgpr_count:     50
    .vgpr_spill_count: 0
    .wavefront_size: 32
  - .args:
      - .address_space:  global
        .offset:         0
        .size:           8
        .value_kind:     global_buffer
      - .address_space:  global
        .offset:         8
        .size:           8
        .value_kind:     global_buffer
      - .offset:         16
        .size:           4
        .value_kind:     by_value
      - .offset:         20
        .size:           4
        .value_kind:     by_value
      - .offset:         24
        .size:           4
        .value_kind:     by_value
      - .offset:         28
        .size:           4
        .value_kind:     by_value
      - .offset:         32
        .size:           4
        .value_kind:     by_value
      - .offset:         36
        .size:           4
        .value_kind:     by_value
      - .offset:         40
        .size:           12
        .value_kind:     by_value
      - .offset:         52
        .size:           12
        .value_kind:     by_value
      - .offset:         64
        .size:           12
        .value_kind:     by_value
    .group_segment_fixed_size: 0
    .kernarg_segment_align: 8
    .kernarg_segment_size: 76
    .language:       OpenCL C
    .language_version:
      - 2
      - 0
    .max_flat_workgroup_size: 80
    .name:           _ZL33flash_attn_stream_k_fixup_uniformILi80ELi32ELi1EEvPfPK15HIP_vector_typeIfLj2EEiiiiiiS1_IjLj3EES5_S5_
    .private_segment_fixed_size: 0
    .sgpr_count:     23
    .sgpr_spill_count: 0
    .symbol:         _ZL33flash_attn_stream_k_fixup_uniformILi80ELi32ELi1EEvPfPK15HIP_vector_typeIfLj2EEiiiiiiS1_IjLj3EES5_S5_.kd
    .uniform_work_group_size: 1
    .uses_dynamic_stack: false
    .vgpr_count:     12
    .vgpr_spill_count: 0
    .wavefront_size: 32
  - .args:
      - .address_space:  global
        .offset:         0
        .size:           8
        .value_kind:     global_buffer
      - .address_space:  global
        .offset:         8
        .size:           8
        .value_kind:     global_buffer
      - .offset:         16
        .size:           4
        .value_kind:     by_value
      - .offset:         20
        .size:           4
        .value_kind:     by_value
      - .offset:         24
        .size:           4
        .value_kind:     by_value
      - .offset:         28
        .size:           4
        .value_kind:     by_value
      - .offset:         32
        .size:           12
        .value_kind:     by_value
      - .offset:         44
        .size:           12
        .value_kind:     by_value
      - .offset:         56
        .size:           12
        .value_kind:     by_value
      - .offset:         68
        .size:           12
        .value_kind:     by_value
      - .offset:         80
        .size:           4
        .value_kind:     hidden_block_count_x
      - .offset:         84
        .size:           4
        .value_kind:     hidden_block_count_y
      - .offset:         88
        .size:           4
        .value_kind:     hidden_block_count_z
      - .offset:         92
        .size:           2
        .value_kind:     hidden_group_size_x
      - .offset:         94
        .size:           2
        .value_kind:     hidden_group_size_y
      - .offset:         96
        .size:           2
        .value_kind:     hidden_group_size_z
      - .offset:         98
        .size:           2
        .value_kind:     hidden_remainder_x
      - .offset:         100
        .size:           2
        .value_kind:     hidden_remainder_y
      - .offset:         102
        .size:           2
        .value_kind:     hidden_remainder_z
      - .offset:         120
        .size:           8
        .value_kind:     hidden_global_offset_x
      - .offset:         128
        .size:           8
        .value_kind:     hidden_global_offset_y
      - .offset:         136
        .size:           8
        .value_kind:     hidden_global_offset_z
      - .offset:         144
        .size:           2
        .value_kind:     hidden_grid_dims
    .group_segment_fixed_size: 0
    .kernarg_segment_align: 8
    .kernarg_segment_size: 336
    .language:       OpenCL C
    .language_version:
      - 2
      - 0
    .max_flat_workgroup_size: 80
    .name:           _ZL33flash_attn_stream_k_fixup_generalILi80ELi32ELi1EEvPfPK15HIP_vector_typeIfLj2EEiiiiS1_IjLj3EES5_S5_S5_
    .private_segment_fixed_size: 0
    .sgpr_count:     48
    .sgpr_spill_count: 0
    .symbol:         _ZL33flash_attn_stream_k_fixup_generalILi80ELi32ELi1EEvPfPK15HIP_vector_typeIfLj2EEiiiiS1_IjLj3EES5_S5_S5_.kd
    .uniform_work_group_size: 1
    .uses_dynamic_stack: false
    .vgpr_count:     12
    .vgpr_spill_count: 0
    .wavefront_size: 32
  - .args:
      - .address_space:  global
        .offset:         0
        .size:           8
        .value_kind:     global_buffer
      - .address_space:  global
        .offset:         8
        .size:           8
        .value_kind:     global_buffer
      - .address_space:  global
        .offset:         16
        .size:           8
        .value_kind:     global_buffer
      - .offset:         24
        .size:           4
        .value_kind:     by_value
      - .offset:         32
        .size:           4
        .value_kind:     hidden_block_count_x
      - .offset:         36
        .size:           4
        .value_kind:     hidden_block_count_y
      - .offset:         40
        .size:           4
        .value_kind:     hidden_block_count_z
      - .offset:         44
        .size:           2
        .value_kind:     hidden_group_size_x
      - .offset:         46
        .size:           2
        .value_kind:     hidden_group_size_y
      - .offset:         48
        .size:           2
        .value_kind:     hidden_group_size_z
      - .offset:         50
        .size:           2
        .value_kind:     hidden_remainder_x
      - .offset:         52
        .size:           2
        .value_kind:     hidden_remainder_y
      - .offset:         54
        .size:           2
        .value_kind:     hidden_remainder_z
      - .offset:         72
        .size:           8
        .value_kind:     hidden_global_offset_x
      - .offset:         80
        .size:           8
        .value_kind:     hidden_global_offset_y
      - .offset:         88
        .size:           8
        .value_kind:     hidden_global_offset_z
      - .offset:         96
        .size:           2
        .value_kind:     hidden_grid_dims
      - .offset:         152
        .size:           4
        .value_kind:     hidden_dynamic_lds_size
    .group_segment_fixed_size: 0
    .kernarg_segment_align: 8
    .kernarg_segment_size: 288
    .language:       OpenCL C
    .language_version:
      - 2
      - 0
    .max_flat_workgroup_size: 80
    .name:           _ZL26flash_attn_combine_resultsILi80EEvPKfPK15HIP_vector_typeIfLj2EEPfi
    .private_segment_fixed_size: 0
    .sgpr_count:     49
    .sgpr_spill_count: 0
    .symbol:         _ZL26flash_attn_combine_resultsILi80EEvPKfPK15HIP_vector_typeIfLj2EEPfi.kd
    .uniform_work_group_size: 1
    .uses_dynamic_stack: false
    .vgpr_count:     36
    .vgpr_spill_count: 0
    .wavefront_size: 32
  - .args:
      - .address_space:  global
        .offset:         0
        .size:           8
        .value_kind:     global_buffer
      - .address_space:  global
        .offset:         8
        .size:           8
        .value_kind:     global_buffer
      - .address_space:  global
        .offset:         16
        .size:           8
        .value_kind:     global_buffer
      - .address_space:  global
        .offset:         24
        .size:           8
        .value_kind:     global_buffer
      - .address_space:  global
        .offset:         32
        .size:           8
        .value_kind:     global_buffer
      - .address_space:  global
        .offset:         40
        .size:           8
        .value_kind:     global_buffer
      - .address_space:  global
        .offset:         48
        .size:           8
        .value_kind:     global_buffer
      - .address_space:  global
        .offset:         56
        .size:           8
        .value_kind:     global_buffer
      - .offset:         64
        .size:           4
        .value_kind:     by_value
      - .offset:         68
        .size:           4
        .value_kind:     by_value
      - .offset:         72
        .size:           4
        .value_kind:     by_value
      - .offset:         76
        .size:           4
        .value_kind:     by_value
      - .offset:         80
        .size:           4
        .value_kind:     by_value
      - .offset:         84
        .size:           4
        .value_kind:     by_value
      - .offset:         88
        .size:           4
        .value_kind:     by_value
      - .offset:         92
        .size:           12
        .value_kind:     by_value
      - .offset:         104
        .size:           4
        .value_kind:     by_value
      - .offset:         108
        .size:           4
        .value_kind:     by_value
      - .offset:         112
        .size:           4
        .value_kind:     by_value
      - .offset:         116
        .size:           4
        .value_kind:     by_value
      - .offset:         120
        .size:           4
        .value_kind:     by_value
      - .offset:         124
        .size:           4
        .value_kind:     by_value
      - .offset:         128
        .size:           4
        .value_kind:     by_value
      - .offset:         132
        .size:           4
        .value_kind:     by_value
      - .offset:         136
        .size:           4
        .value_kind:     by_value
      - .offset:         140
        .size:           4
        .value_kind:     by_value
      - .offset:         144
        .size:           4
        .value_kind:     by_value
      - .offset:         152
        .size:           8
        .value_kind:     by_value
      - .offset:         160
        .size:           4
        .value_kind:     by_value
      - .offset:         164
        .size:           4
        .value_kind:     by_value
      - .offset:         168
        .size:           8
        .value_kind:     by_value
      - .offset:         176
        .size:           4
        .value_kind:     by_value
      - .offset:         180
        .size:           4
        .value_kind:     by_value
      - .offset:         184
        .size:           4
        .value_kind:     by_value
      - .offset:         188
        .size:           4
        .value_kind:     by_value
      - .offset:         192
        .size:           4
        .value_kind:     by_value
      - .offset:         200
        .size:           8
        .value_kind:     by_value
      - .offset:         208
        .size:           4
        .value_kind:     hidden_block_count_x
      - .offset:         212
        .size:           4
        .value_kind:     hidden_block_count_y
      - .offset:         216
        .size:           4
        .value_kind:     hidden_block_count_z
      - .offset:         220
        .size:           2
        .value_kind:     hidden_group_size_x
      - .offset:         222
        .size:           2
        .value_kind:     hidden_group_size_y
      - .offset:         224
        .size:           2
        .value_kind:     hidden_group_size_z
      - .offset:         226
        .size:           2
        .value_kind:     hidden_remainder_x
      - .offset:         228
        .size:           2
        .value_kind:     hidden_remainder_y
      - .offset:         230
        .size:           2
        .value_kind:     hidden_remainder_z
      - .offset:         248
        .size:           8
        .value_kind:     hidden_global_offset_x
      - .offset:         256
        .size:           8
        .value_kind:     hidden_global_offset_y
      - .offset:         264
        .size:           8
        .value_kind:     hidden_global_offset_z
      - .offset:         272
        .size:           2
        .value_kind:     hidden_grid_dims
      - .offset:         288
        .size:           8
        .value_kind:     hidden_hostcall_buffer
    .group_segment_fixed_size: 0
    .kernarg_segment_align: 8
    .kernarg_segment_size: 464
    .language:       OpenCL C
    .language_version:
      - 2
      - 0
    .max_flat_workgroup_size: 128
    .name:           _ZL18flash_attn_ext_f16ILi96ELi96ELi32ELi1ELb0ELb0EEvPKcS1_S1_S1_S1_PKiPfP15HIP_vector_typeIfLj2EEffffjfiS5_IjLj3EEiiiiiiiiiiiliiliiiiil
    .private_segment_fixed_size: 16
    .sgpr_count:     36
    .sgpr_spill_count: 0
    .symbol:         _ZL18flash_attn_ext_f16ILi96ELi96ELi32ELi1ELb0ELb0EEvPKcS1_S1_S1_S1_PKiPfP15HIP_vector_typeIfLj2EEffffjfiS5_IjLj3EEiiiiiiiiiiiliiliiiiil.kd
    .uniform_work_group_size: 1
    .uses_dynamic_stack: false
    .vgpr_count:     50
    .vgpr_spill_count: 0
    .wavefront_size: 32
  - .args:
      - .address_space:  global
        .offset:         0
        .size:           8
        .value_kind:     global_buffer
      - .address_space:  global
        .offset:         8
        .size:           8
        .value_kind:     global_buffer
      - .address_space:  global
        .offset:         16
        .size:           8
        .value_kind:     global_buffer
      - .address_space:  global
        .offset:         24
        .size:           8
        .value_kind:     global_buffer
      - .address_space:  global
        .offset:         32
        .size:           8
        .value_kind:     global_buffer
      - .address_space:  global
        .offset:         40
        .size:           8
        .value_kind:     global_buffer
      - .address_space:  global
        .offset:         48
        .size:           8
        .value_kind:     global_buffer
      - .address_space:  global
        .offset:         56
        .size:           8
        .value_kind:     global_buffer
      - .offset:         64
        .size:           4
        .value_kind:     by_value
      - .offset:         68
        .size:           4
        .value_kind:     by_value
      - .offset:         72
        .size:           4
        .value_kind:     by_value
      - .offset:         76
        .size:           4
        .value_kind:     by_value
      - .offset:         80
        .size:           4
        .value_kind:     by_value
      - .offset:         84
        .size:           4
        .value_kind:     by_value
      - .offset:         88
        .size:           4
        .value_kind:     by_value
      - .offset:         92
        .size:           12
        .value_kind:     by_value
      - .offset:         104
        .size:           4
        .value_kind:     by_value
      - .offset:         108
        .size:           4
        .value_kind:     by_value
      - .offset:         112
        .size:           4
        .value_kind:     by_value
      - .offset:         116
        .size:           4
        .value_kind:     by_value
      - .offset:         120
        .size:           4
        .value_kind:     by_value
      - .offset:         124
        .size:           4
        .value_kind:     by_value
      - .offset:         128
        .size:           4
        .value_kind:     by_value
      - .offset:         132
        .size:           4
        .value_kind:     by_value
      - .offset:         136
        .size:           4
        .value_kind:     by_value
      - .offset:         140
        .size:           4
        .value_kind:     by_value
      - .offset:         144
        .size:           4
        .value_kind:     by_value
      - .offset:         152
        .size:           8
        .value_kind:     by_value
      - .offset:         160
        .size:           4
        .value_kind:     by_value
      - .offset:         164
        .size:           4
        .value_kind:     by_value
      - .offset:         168
        .size:           8
        .value_kind:     by_value
      - .offset:         176
        .size:           4
        .value_kind:     by_value
      - .offset:         180
        .size:           4
        .value_kind:     by_value
      - .offset:         184
        .size:           4
        .value_kind:     by_value
      - .offset:         188
        .size:           4
        .value_kind:     by_value
      - .offset:         192
        .size:           4
        .value_kind:     by_value
      - .offset:         200
        .size:           8
        .value_kind:     by_value
      - .offset:         208
        .size:           4
        .value_kind:     hidden_block_count_x
      - .offset:         212
        .size:           4
        .value_kind:     hidden_block_count_y
      - .offset:         216
        .size:           4
        .value_kind:     hidden_block_count_z
      - .offset:         220
        .size:           2
        .value_kind:     hidden_group_size_x
      - .offset:         222
        .size:           2
        .value_kind:     hidden_group_size_y
      - .offset:         224
        .size:           2
        .value_kind:     hidden_group_size_z
      - .offset:         226
        .size:           2
        .value_kind:     hidden_remainder_x
      - .offset:         228
        .size:           2
        .value_kind:     hidden_remainder_y
      - .offset:         230
        .size:           2
        .value_kind:     hidden_remainder_z
      - .offset:         248
        .size:           8
        .value_kind:     hidden_global_offset_x
      - .offset:         256
        .size:           8
        .value_kind:     hidden_global_offset_y
      - .offset:         264
        .size:           8
        .value_kind:     hidden_global_offset_z
      - .offset:         272
        .size:           2
        .value_kind:     hidden_grid_dims
      - .offset:         288
        .size:           8
        .value_kind:     hidden_hostcall_buffer
    .group_segment_fixed_size: 0
    .kernarg_segment_align: 8
    .kernarg_segment_size: 464
    .language:       OpenCL C
    .language_version:
      - 2
      - 0
    .max_flat_workgroup_size: 128
    .name:           _ZL18flash_attn_ext_f16ILi96ELi96ELi32ELi1ELb1ELb0EEvPKcS1_S1_S1_S1_PKiPfP15HIP_vector_typeIfLj2EEffffjfiS5_IjLj3EEiiiiiiiiiiiliiliiiiil
    .private_segment_fixed_size: 16
    .sgpr_count:     36
    .sgpr_spill_count: 0
    .symbol:         _ZL18flash_attn_ext_f16ILi96ELi96ELi32ELi1ELb1ELb0EEvPKcS1_S1_S1_S1_PKiPfP15HIP_vector_typeIfLj2EEffffjfiS5_IjLj3EEiiiiiiiiiiiliiliiiiil.kd
    .uniform_work_group_size: 1
    .uses_dynamic_stack: false
    .vgpr_count:     50
    .vgpr_spill_count: 0
    .wavefront_size: 32
  - .args:
      - .address_space:  global
        .offset:         0
        .size:           8
        .value_kind:     global_buffer
      - .address_space:  global
        .offset:         8
        .size:           8
        .value_kind:     global_buffer
      - .offset:         16
        .size:           4
        .value_kind:     by_value
      - .offset:         20
        .size:           4
        .value_kind:     by_value
      - .offset:         24
        .size:           4
        .value_kind:     by_value
      - .offset:         28
        .size:           4
        .value_kind:     by_value
      - .offset:         32
        .size:           4
        .value_kind:     by_value
      - .offset:         36
        .size:           4
        .value_kind:     by_value
      - .offset:         40
        .size:           12
        .value_kind:     by_value
      - .offset:         52
        .size:           12
        .value_kind:     by_value
      - .offset:         64
        .size:           12
        .value_kind:     by_value
    .group_segment_fixed_size: 0
    .kernarg_segment_align: 8
    .kernarg_segment_size: 76
    .language:       OpenCL C
    .language_version:
      - 2
      - 0
    .max_flat_workgroup_size: 96
    .name:           _ZL33flash_attn_stream_k_fixup_uniformILi96ELi32ELi1EEvPfPK15HIP_vector_typeIfLj2EEiiiiiiS1_IjLj3EES5_S5_
    .private_segment_fixed_size: 0
    .sgpr_count:     23
    .sgpr_spill_count: 0
    .symbol:         _ZL33flash_attn_stream_k_fixup_uniformILi96ELi32ELi1EEvPfPK15HIP_vector_typeIfLj2EEiiiiiiS1_IjLj3EES5_S5_.kd
    .uniform_work_group_size: 1
    .uses_dynamic_stack: false
    .vgpr_count:     12
    .vgpr_spill_count: 0
    .wavefront_size: 32
  - .args:
      - .address_space:  global
        .offset:         0
        .size:           8
        .value_kind:     global_buffer
      - .address_space:  global
        .offset:         8
        .size:           8
        .value_kind:     global_buffer
      - .offset:         16
        .size:           4
        .value_kind:     by_value
      - .offset:         20
        .size:           4
        .value_kind:     by_value
      - .offset:         24
        .size:           4
        .value_kind:     by_value
      - .offset:         28
        .size:           4
        .value_kind:     by_value
      - .offset:         32
        .size:           12
        .value_kind:     by_value
      - .offset:         44
        .size:           12
        .value_kind:     by_value
      - .offset:         56
        .size:           12
        .value_kind:     by_value
      - .offset:         68
        .size:           12
        .value_kind:     by_value
      - .offset:         80
        .size:           4
        .value_kind:     hidden_block_count_x
      - .offset:         84
        .size:           4
        .value_kind:     hidden_block_count_y
      - .offset:         88
        .size:           4
        .value_kind:     hidden_block_count_z
      - .offset:         92
        .size:           2
        .value_kind:     hidden_group_size_x
      - .offset:         94
        .size:           2
        .value_kind:     hidden_group_size_y
      - .offset:         96
        .size:           2
        .value_kind:     hidden_group_size_z
      - .offset:         98
        .size:           2
        .value_kind:     hidden_remainder_x
      - .offset:         100
        .size:           2
        .value_kind:     hidden_remainder_y
      - .offset:         102
        .size:           2
        .value_kind:     hidden_remainder_z
      - .offset:         120
        .size:           8
        .value_kind:     hidden_global_offset_x
      - .offset:         128
        .size:           8
        .value_kind:     hidden_global_offset_y
      - .offset:         136
        .size:           8
        .value_kind:     hidden_global_offset_z
      - .offset:         144
        .size:           2
        .value_kind:     hidden_grid_dims
    .group_segment_fixed_size: 0
    .kernarg_segment_align: 8
    .kernarg_segment_size: 336
    .language:       OpenCL C
    .language_version:
      - 2
      - 0
    .max_flat_workgroup_size: 96
    .name:           _ZL33flash_attn_stream_k_fixup_generalILi96ELi32ELi1EEvPfPK15HIP_vector_typeIfLj2EEiiiiS1_IjLj3EES5_S5_S5_
    .private_segment_fixed_size: 0
    .sgpr_count:     48
    .sgpr_spill_count: 0
    .symbol:         _ZL33flash_attn_stream_k_fixup_generalILi96ELi32ELi1EEvPfPK15HIP_vector_typeIfLj2EEiiiiS1_IjLj3EES5_S5_S5_.kd
    .uniform_work_group_size: 1
    .uses_dynamic_stack: false
    .vgpr_count:     12
    .vgpr_spill_count: 0
    .wavefront_size: 32
  - .args:
      - .address_space:  global
        .offset:         0
        .size:           8
        .value_kind:     global_buffer
      - .address_space:  global
        .offset:         8
        .size:           8
        .value_kind:     global_buffer
      - .address_space:  global
        .offset:         16
        .size:           8
        .value_kind:     global_buffer
      - .offset:         24
        .size:           4
        .value_kind:     by_value
      - .offset:         32
        .size:           4
        .value_kind:     hidden_block_count_x
      - .offset:         36
        .size:           4
        .value_kind:     hidden_block_count_y
      - .offset:         40
        .size:           4
        .value_kind:     hidden_block_count_z
      - .offset:         44
        .size:           2
        .value_kind:     hidden_group_size_x
      - .offset:         46
        .size:           2
        .value_kind:     hidden_group_size_y
      - .offset:         48
        .size:           2
        .value_kind:     hidden_group_size_z
      - .offset:         50
        .size:           2
        .value_kind:     hidden_remainder_x
      - .offset:         52
        .size:           2
        .value_kind:     hidden_remainder_y
      - .offset:         54
        .size:           2
        .value_kind:     hidden_remainder_z
      - .offset:         72
        .size:           8
        .value_kind:     hidden_global_offset_x
      - .offset:         80
        .size:           8
        .value_kind:     hidden_global_offset_y
      - .offset:         88
        .size:           8
        .value_kind:     hidden_global_offset_z
      - .offset:         96
        .size:           2
        .value_kind:     hidden_grid_dims
      - .offset:         152
        .size:           4
        .value_kind:     hidden_dynamic_lds_size
    .group_segment_fixed_size: 0
    .kernarg_segment_align: 8
    .kernarg_segment_size: 288
    .language:       OpenCL C
    .language_version:
      - 2
      - 0
    .max_flat_workgroup_size: 96
    .name:           _ZL26flash_attn_combine_resultsILi96EEvPKfPK15HIP_vector_typeIfLj2EEPfi
    .private_segment_fixed_size: 0
    .sgpr_count:     49
    .sgpr_spill_count: 0
    .symbol:         _ZL26flash_attn_combine_resultsILi96EEvPKfPK15HIP_vector_typeIfLj2EEPfi.kd
    .uniform_work_group_size: 1
    .uses_dynamic_stack: false
    .vgpr_count:     38
    .vgpr_spill_count: 0
    .wavefront_size: 32
  - .args:
      - .address_space:  global
        .offset:         0
        .size:           8
        .value_kind:     global_buffer
      - .address_space:  global
        .offset:         8
        .size:           8
        .value_kind:     global_buffer
      - .address_space:  global
        .offset:         16
        .size:           8
        .value_kind:     global_buffer
      - .address_space:  global
        .offset:         24
        .size:           8
        .value_kind:     global_buffer
      - .address_space:  global
        .offset:         32
        .size:           8
        .value_kind:     global_buffer
      - .address_space:  global
        .offset:         40
        .size:           8
        .value_kind:     global_buffer
      - .address_space:  global
        .offset:         48
        .size:           8
        .value_kind:     global_buffer
      - .address_space:  global
        .offset:         56
        .size:           8
        .value_kind:     global_buffer
      - .offset:         64
        .size:           4
        .value_kind:     by_value
      - .offset:         68
        .size:           4
        .value_kind:     by_value
      - .offset:         72
        .size:           4
        .value_kind:     by_value
      - .offset:         76
        .size:           4
        .value_kind:     by_value
      - .offset:         80
        .size:           4
        .value_kind:     by_value
      - .offset:         84
        .size:           4
        .value_kind:     by_value
      - .offset:         88
        .size:           4
        .value_kind:     by_value
      - .offset:         92
        .size:           12
        .value_kind:     by_value
      - .offset:         104
        .size:           4
        .value_kind:     by_value
      - .offset:         108
        .size:           4
        .value_kind:     by_value
      - .offset:         112
        .size:           4
        .value_kind:     by_value
      - .offset:         116
        .size:           4
        .value_kind:     by_value
      - .offset:         120
        .size:           4
        .value_kind:     by_value
      - .offset:         124
        .size:           4
        .value_kind:     by_value
      - .offset:         128
        .size:           4
        .value_kind:     by_value
      - .offset:         132
        .size:           4
        .value_kind:     by_value
      - .offset:         136
        .size:           4
        .value_kind:     by_value
      - .offset:         140
        .size:           4
        .value_kind:     by_value
      - .offset:         144
        .size:           4
        .value_kind:     by_value
      - .offset:         152
        .size:           8
        .value_kind:     by_value
      - .offset:         160
        .size:           4
        .value_kind:     by_value
      - .offset:         164
        .size:           4
        .value_kind:     by_value
      - .offset:         168
        .size:           8
        .value_kind:     by_value
      - .offset:         176
        .size:           4
        .value_kind:     by_value
      - .offset:         180
        .size:           4
        .value_kind:     by_value
      - .offset:         184
        .size:           4
        .value_kind:     by_value
      - .offset:         188
        .size:           4
        .value_kind:     by_value
      - .offset:         192
        .size:           4
        .value_kind:     by_value
      - .offset:         200
        .size:           8
        .value_kind:     by_value
      - .offset:         208
        .size:           4
        .value_kind:     hidden_block_count_x
      - .offset:         212
        .size:           4
        .value_kind:     hidden_block_count_y
      - .offset:         216
        .size:           4
        .value_kind:     hidden_block_count_z
      - .offset:         220
        .size:           2
        .value_kind:     hidden_group_size_x
      - .offset:         222
        .size:           2
        .value_kind:     hidden_group_size_y
      - .offset:         224
        .size:           2
        .value_kind:     hidden_group_size_z
      - .offset:         226
        .size:           2
        .value_kind:     hidden_remainder_x
      - .offset:         228
        .size:           2
        .value_kind:     hidden_remainder_y
      - .offset:         230
        .size:           2
        .value_kind:     hidden_remainder_z
      - .offset:         248
        .size:           8
        .value_kind:     hidden_global_offset_x
      - .offset:         256
        .size:           8
        .value_kind:     hidden_global_offset_y
      - .offset:         264
        .size:           8
        .value_kind:     hidden_global_offset_z
      - .offset:         272
        .size:           2
        .value_kind:     hidden_grid_dims
      - .offset:         288
        .size:           8
        .value_kind:     hidden_hostcall_buffer
    .group_segment_fixed_size: 0
    .kernarg_segment_align: 8
    .kernarg_segment_size: 464
    .language:       OpenCL C
    .language_version:
      - 2
      - 0
    .max_flat_workgroup_size: 128
    .name:           _ZL18flash_attn_ext_f16ILi112ELi112ELi32ELi1ELb0ELb0EEvPKcS1_S1_S1_S1_PKiPfP15HIP_vector_typeIfLj2EEffffjfiS5_IjLj3EEiiiiiiiiiiiliiliiiiil
    .private_segment_fixed_size: 16
    .sgpr_count:     36
    .sgpr_spill_count: 0
    .symbol:         _ZL18flash_attn_ext_f16ILi112ELi112ELi32ELi1ELb0ELb0EEvPKcS1_S1_S1_S1_PKiPfP15HIP_vector_typeIfLj2EEffffjfiS5_IjLj3EEiiiiiiiiiiiliiliiiiil.kd
    .uniform_work_group_size: 1
    .uses_dynamic_stack: false
    .vgpr_count:     50
    .vgpr_spill_count: 0
    .wavefront_size: 32
  - .args:
      - .address_space:  global
        .offset:         0
        .size:           8
        .value_kind:     global_buffer
      - .address_space:  global
        .offset:         8
        .size:           8
        .value_kind:     global_buffer
      - .address_space:  global
        .offset:         16
        .size:           8
        .value_kind:     global_buffer
      - .address_space:  global
        .offset:         24
        .size:           8
        .value_kind:     global_buffer
      - .address_space:  global
        .offset:         32
        .size:           8
        .value_kind:     global_buffer
      - .address_space:  global
        .offset:         40
        .size:           8
        .value_kind:     global_buffer
      - .address_space:  global
        .offset:         48
        .size:           8
        .value_kind:     global_buffer
      - .address_space:  global
        .offset:         56
        .size:           8
        .value_kind:     global_buffer
      - .offset:         64
        .size:           4
        .value_kind:     by_value
      - .offset:         68
        .size:           4
        .value_kind:     by_value
      - .offset:         72
        .size:           4
        .value_kind:     by_value
      - .offset:         76
        .size:           4
        .value_kind:     by_value
      - .offset:         80
        .size:           4
        .value_kind:     by_value
      - .offset:         84
        .size:           4
        .value_kind:     by_value
      - .offset:         88
        .size:           4
        .value_kind:     by_value
      - .offset:         92
        .size:           12
        .value_kind:     by_value
      - .offset:         104
        .size:           4
        .value_kind:     by_value
      - .offset:         108
        .size:           4
        .value_kind:     by_value
      - .offset:         112
        .size:           4
        .value_kind:     by_value
      - .offset:         116
        .size:           4
        .value_kind:     by_value
      - .offset:         120
        .size:           4
        .value_kind:     by_value
      - .offset:         124
        .size:           4
        .value_kind:     by_value
      - .offset:         128
        .size:           4
        .value_kind:     by_value
      - .offset:         132
        .size:           4
        .value_kind:     by_value
      - .offset:         136
        .size:           4
        .value_kind:     by_value
      - .offset:         140
        .size:           4
        .value_kind:     by_value
      - .offset:         144
        .size:           4
        .value_kind:     by_value
      - .offset:         152
        .size:           8
        .value_kind:     by_value
      - .offset:         160
        .size:           4
        .value_kind:     by_value
      - .offset:         164
        .size:           4
        .value_kind:     by_value
      - .offset:         168
        .size:           8
        .value_kind:     by_value
      - .offset:         176
        .size:           4
        .value_kind:     by_value
      - .offset:         180
        .size:           4
        .value_kind:     by_value
      - .offset:         184
        .size:           4
        .value_kind:     by_value
      - .offset:         188
        .size:           4
        .value_kind:     by_value
      - .offset:         192
        .size:           4
        .value_kind:     by_value
      - .offset:         200
        .size:           8
        .value_kind:     by_value
      - .offset:         208
        .size:           4
        .value_kind:     hidden_block_count_x
      - .offset:         212
        .size:           4
        .value_kind:     hidden_block_count_y
      - .offset:         216
        .size:           4
        .value_kind:     hidden_block_count_z
      - .offset:         220
        .size:           2
        .value_kind:     hidden_group_size_x
      - .offset:         222
        .size:           2
        .value_kind:     hidden_group_size_y
      - .offset:         224
        .size:           2
        .value_kind:     hidden_group_size_z
      - .offset:         226
        .size:           2
        .value_kind:     hidden_remainder_x
      - .offset:         228
        .size:           2
        .value_kind:     hidden_remainder_y
      - .offset:         230
        .size:           2
        .value_kind:     hidden_remainder_z
      - .offset:         248
        .size:           8
        .value_kind:     hidden_global_offset_x
      - .offset:         256
        .size:           8
        .value_kind:     hidden_global_offset_y
      - .offset:         264
        .size:           8
        .value_kind:     hidden_global_offset_z
      - .offset:         272
        .size:           2
        .value_kind:     hidden_grid_dims
      - .offset:         288
        .size:           8
        .value_kind:     hidden_hostcall_buffer
    .group_segment_fixed_size: 0
    .kernarg_segment_align: 8
    .kernarg_segment_size: 464
    .language:       OpenCL C
    .language_version:
      - 2
      - 0
    .max_flat_workgroup_size: 128
    .name:           _ZL18flash_attn_ext_f16ILi112ELi112ELi32ELi1ELb1ELb0EEvPKcS1_S1_S1_S1_PKiPfP15HIP_vector_typeIfLj2EEffffjfiS5_IjLj3EEiiiiiiiiiiiliiliiiiil
    .private_segment_fixed_size: 16
    .sgpr_count:     36
    .sgpr_spill_count: 0
    .symbol:         _ZL18flash_attn_ext_f16ILi112ELi112ELi32ELi1ELb1ELb0EEvPKcS1_S1_S1_S1_PKiPfP15HIP_vector_typeIfLj2EEffffjfiS5_IjLj3EEiiiiiiiiiiiliiliiiiil.kd
    .uniform_work_group_size: 1
    .uses_dynamic_stack: false
    .vgpr_count:     50
    .vgpr_spill_count: 0
    .wavefront_size: 32
  - .args:
      - .address_space:  global
        .offset:         0
        .size:           8
        .value_kind:     global_buffer
      - .address_space:  global
        .offset:         8
        .size:           8
        .value_kind:     global_buffer
      - .offset:         16
        .size:           4
        .value_kind:     by_value
      - .offset:         20
        .size:           4
        .value_kind:     by_value
      - .offset:         24
        .size:           4
        .value_kind:     by_value
      - .offset:         28
        .size:           4
        .value_kind:     by_value
      - .offset:         32
        .size:           4
        .value_kind:     by_value
      - .offset:         36
        .size:           4
        .value_kind:     by_value
      - .offset:         40
        .size:           12
        .value_kind:     by_value
      - .offset:         52
        .size:           12
        .value_kind:     by_value
      - .offset:         64
        .size:           12
        .value_kind:     by_value
    .group_segment_fixed_size: 0
    .kernarg_segment_align: 8
    .kernarg_segment_size: 76
    .language:       OpenCL C
    .language_version:
      - 2
      - 0
    .max_flat_workgroup_size: 112
    .name:           _ZL33flash_attn_stream_k_fixup_uniformILi112ELi32ELi1EEvPfPK15HIP_vector_typeIfLj2EEiiiiiiS1_IjLj3EES5_S5_
    .private_segment_fixed_size: 0
    .sgpr_count:     23
    .sgpr_spill_count: 0
    .symbol:         _ZL33flash_attn_stream_k_fixup_uniformILi112ELi32ELi1EEvPfPK15HIP_vector_typeIfLj2EEiiiiiiS1_IjLj3EES5_S5_.kd
    .uniform_work_group_size: 1
    .uses_dynamic_stack: false
    .vgpr_count:     12
    .vgpr_spill_count: 0
    .wavefront_size: 32
  - .args:
      - .address_space:  global
        .offset:         0
        .size:           8
        .value_kind:     global_buffer
      - .address_space:  global
        .offset:         8
        .size:           8
        .value_kind:     global_buffer
      - .offset:         16
        .size:           4
        .value_kind:     by_value
      - .offset:         20
        .size:           4
        .value_kind:     by_value
      - .offset:         24
        .size:           4
        .value_kind:     by_value
      - .offset:         28
        .size:           4
        .value_kind:     by_value
      - .offset:         32
        .size:           12
        .value_kind:     by_value
      - .offset:         44
        .size:           12
        .value_kind:     by_value
      - .offset:         56
        .size:           12
        .value_kind:     by_value
      - .offset:         68
        .size:           12
        .value_kind:     by_value
      - .offset:         80
        .size:           4
        .value_kind:     hidden_block_count_x
      - .offset:         84
        .size:           4
        .value_kind:     hidden_block_count_y
      - .offset:         88
        .size:           4
        .value_kind:     hidden_block_count_z
      - .offset:         92
        .size:           2
        .value_kind:     hidden_group_size_x
      - .offset:         94
        .size:           2
        .value_kind:     hidden_group_size_y
      - .offset:         96
        .size:           2
        .value_kind:     hidden_group_size_z
      - .offset:         98
        .size:           2
        .value_kind:     hidden_remainder_x
      - .offset:         100
        .size:           2
        .value_kind:     hidden_remainder_y
      - .offset:         102
        .size:           2
        .value_kind:     hidden_remainder_z
      - .offset:         120
        .size:           8
        .value_kind:     hidden_global_offset_x
      - .offset:         128
        .size:           8
        .value_kind:     hidden_global_offset_y
      - .offset:         136
        .size:           8
        .value_kind:     hidden_global_offset_z
      - .offset:         144
        .size:           2
        .value_kind:     hidden_grid_dims
    .group_segment_fixed_size: 0
    .kernarg_segment_align: 8
    .kernarg_segment_size: 336
    .language:       OpenCL C
    .language_version:
      - 2
      - 0
    .max_flat_workgroup_size: 112
    .name:           _ZL33flash_attn_stream_k_fixup_generalILi112ELi32ELi1EEvPfPK15HIP_vector_typeIfLj2EEiiiiS1_IjLj3EES5_S5_S5_
    .private_segment_fixed_size: 0
    .sgpr_count:     48
    .sgpr_spill_count: 0
    .symbol:         _ZL33flash_attn_stream_k_fixup_generalILi112ELi32ELi1EEvPfPK15HIP_vector_typeIfLj2EEiiiiS1_IjLj3EES5_S5_S5_.kd
    .uniform_work_group_size: 1
    .uses_dynamic_stack: false
    .vgpr_count:     12
    .vgpr_spill_count: 0
    .wavefront_size: 32
  - .args:
      - .address_space:  global
        .offset:         0
        .size:           8
        .value_kind:     global_buffer
      - .address_space:  global
        .offset:         8
        .size:           8
        .value_kind:     global_buffer
      - .address_space:  global
        .offset:         16
        .size:           8
        .value_kind:     global_buffer
      - .offset:         24
        .size:           4
        .value_kind:     by_value
      - .offset:         32
        .size:           4
        .value_kind:     hidden_block_count_x
      - .offset:         36
        .size:           4
        .value_kind:     hidden_block_count_y
      - .offset:         40
        .size:           4
        .value_kind:     hidden_block_count_z
      - .offset:         44
        .size:           2
        .value_kind:     hidden_group_size_x
      - .offset:         46
        .size:           2
        .value_kind:     hidden_group_size_y
      - .offset:         48
        .size:           2
        .value_kind:     hidden_group_size_z
      - .offset:         50
        .size:           2
        .value_kind:     hidden_remainder_x
      - .offset:         52
        .size:           2
        .value_kind:     hidden_remainder_y
      - .offset:         54
        .size:           2
        .value_kind:     hidden_remainder_z
      - .offset:         72
        .size:           8
        .value_kind:     hidden_global_offset_x
      - .offset:         80
        .size:           8
        .value_kind:     hidden_global_offset_y
      - .offset:         88
        .size:           8
        .value_kind:     hidden_global_offset_z
      - .offset:         96
        .size:           2
        .value_kind:     hidden_grid_dims
      - .offset:         152
        .size:           4
        .value_kind:     hidden_dynamic_lds_size
    .group_segment_fixed_size: 0
    .kernarg_segment_align: 8
    .kernarg_segment_size: 288
    .language:       OpenCL C
    .language_version:
      - 2
      - 0
    .max_flat_workgroup_size: 112
    .name:           _ZL26flash_attn_combine_resultsILi112EEvPKfPK15HIP_vector_typeIfLj2EEPfi
    .private_segment_fixed_size: 0
    .sgpr_count:     49
    .sgpr_spill_count: 0
    .symbol:         _ZL26flash_attn_combine_resultsILi112EEvPKfPK15HIP_vector_typeIfLj2EEPfi.kd
    .uniform_work_group_size: 1
    .uses_dynamic_stack: false
    .vgpr_count:     36
    .vgpr_spill_count: 0
    .wavefront_size: 32
  - .args:
      - .address_space:  global
        .offset:         0
        .size:           8
        .value_kind:     global_buffer
      - .address_space:  global
        .offset:         8
        .size:           8
        .value_kind:     global_buffer
      - .address_space:  global
        .offset:         16
        .size:           8
        .value_kind:     global_buffer
      - .address_space:  global
        .offset:         24
        .size:           8
        .value_kind:     global_buffer
      - .address_space:  global
        .offset:         32
        .size:           8
        .value_kind:     global_buffer
      - .address_space:  global
        .offset:         40
        .size:           8
        .value_kind:     global_buffer
      - .address_space:  global
        .offset:         48
        .size:           8
        .value_kind:     global_buffer
      - .address_space:  global
        .offset:         56
        .size:           8
        .value_kind:     global_buffer
      - .offset:         64
        .size:           4
        .value_kind:     by_value
      - .offset:         68
        .size:           4
        .value_kind:     by_value
      - .offset:         72
        .size:           4
        .value_kind:     by_value
      - .offset:         76
        .size:           4
        .value_kind:     by_value
      - .offset:         80
        .size:           4
        .value_kind:     by_value
      - .offset:         84
        .size:           4
        .value_kind:     by_value
      - .offset:         88
        .size:           4
        .value_kind:     by_value
      - .offset:         92
        .size:           12
        .value_kind:     by_value
      - .offset:         104
        .size:           4
        .value_kind:     by_value
      - .offset:         108
        .size:           4
        .value_kind:     by_value
      - .offset:         112
        .size:           4
        .value_kind:     by_value
      - .offset:         116
        .size:           4
        .value_kind:     by_value
      - .offset:         120
        .size:           4
        .value_kind:     by_value
      - .offset:         124
        .size:           4
        .value_kind:     by_value
      - .offset:         128
        .size:           4
        .value_kind:     by_value
      - .offset:         132
        .size:           4
        .value_kind:     by_value
      - .offset:         136
        .size:           4
        .value_kind:     by_value
      - .offset:         140
        .size:           4
        .value_kind:     by_value
      - .offset:         144
        .size:           4
        .value_kind:     by_value
      - .offset:         152
        .size:           8
        .value_kind:     by_value
      - .offset:         160
        .size:           4
        .value_kind:     by_value
      - .offset:         164
        .size:           4
        .value_kind:     by_value
      - .offset:         168
        .size:           8
        .value_kind:     by_value
      - .offset:         176
        .size:           4
        .value_kind:     by_value
      - .offset:         180
        .size:           4
        .value_kind:     by_value
      - .offset:         184
        .size:           4
        .value_kind:     by_value
      - .offset:         188
        .size:           4
        .value_kind:     by_value
      - .offset:         192
        .size:           4
        .value_kind:     by_value
      - .offset:         200
        .size:           8
        .value_kind:     by_value
      - .offset:         208
        .size:           4
        .value_kind:     hidden_block_count_x
      - .offset:         212
        .size:           4
        .value_kind:     hidden_block_count_y
      - .offset:         216
        .size:           4
        .value_kind:     hidden_block_count_z
      - .offset:         220
        .size:           2
        .value_kind:     hidden_group_size_x
      - .offset:         222
        .size:           2
        .value_kind:     hidden_group_size_y
      - .offset:         224
        .size:           2
        .value_kind:     hidden_group_size_z
      - .offset:         226
        .size:           2
        .value_kind:     hidden_remainder_x
      - .offset:         228
        .size:           2
        .value_kind:     hidden_remainder_y
      - .offset:         230
        .size:           2
        .value_kind:     hidden_remainder_z
      - .offset:         248
        .size:           8
        .value_kind:     hidden_global_offset_x
      - .offset:         256
        .size:           8
        .value_kind:     hidden_global_offset_y
      - .offset:         264
        .size:           8
        .value_kind:     hidden_global_offset_z
      - .offset:         272
        .size:           2
        .value_kind:     hidden_grid_dims
      - .offset:         288
        .size:           8
        .value_kind:     hidden_hostcall_buffer
    .group_segment_fixed_size: 0
    .kernarg_segment_align: 8
    .kernarg_segment_size: 464
    .language:       OpenCL C
    .language_version:
      - 2
      - 0
    .max_flat_workgroup_size: 128
    .name:           _ZL18flash_attn_ext_f16ILi128ELi128ELi32ELi1ELb0ELb0EEvPKcS1_S1_S1_S1_PKiPfP15HIP_vector_typeIfLj2EEffffjfiS5_IjLj3EEiiiiiiiiiiiliiliiiiil
    .private_segment_fixed_size: 16
    .sgpr_count:     36
    .sgpr_spill_count: 0
    .symbol:         _ZL18flash_attn_ext_f16ILi128ELi128ELi32ELi1ELb0ELb0EEvPKcS1_S1_S1_S1_PKiPfP15HIP_vector_typeIfLj2EEffffjfiS5_IjLj3EEiiiiiiiiiiiliiliiiiil.kd
    .uniform_work_group_size: 1
    .uses_dynamic_stack: false
    .vgpr_count:     50
    .vgpr_spill_count: 0
    .wavefront_size: 32
  - .args:
      - .address_space:  global
        .offset:         0
        .size:           8
        .value_kind:     global_buffer
      - .address_space:  global
        .offset:         8
        .size:           8
        .value_kind:     global_buffer
      - .address_space:  global
        .offset:         16
        .size:           8
        .value_kind:     global_buffer
      - .address_space:  global
        .offset:         24
        .size:           8
        .value_kind:     global_buffer
      - .address_space:  global
        .offset:         32
        .size:           8
        .value_kind:     global_buffer
      - .address_space:  global
        .offset:         40
        .size:           8
        .value_kind:     global_buffer
      - .address_space:  global
        .offset:         48
        .size:           8
        .value_kind:     global_buffer
      - .address_space:  global
        .offset:         56
        .size:           8
        .value_kind:     global_buffer
      - .offset:         64
        .size:           4
        .value_kind:     by_value
      - .offset:         68
        .size:           4
        .value_kind:     by_value
      - .offset:         72
        .size:           4
        .value_kind:     by_value
      - .offset:         76
        .size:           4
        .value_kind:     by_value
      - .offset:         80
        .size:           4
        .value_kind:     by_value
      - .offset:         84
        .size:           4
        .value_kind:     by_value
      - .offset:         88
        .size:           4
        .value_kind:     by_value
      - .offset:         92
        .size:           12
        .value_kind:     by_value
      - .offset:         104
        .size:           4
        .value_kind:     by_value
      - .offset:         108
        .size:           4
        .value_kind:     by_value
      - .offset:         112
        .size:           4
        .value_kind:     by_value
      - .offset:         116
        .size:           4
        .value_kind:     by_value
      - .offset:         120
        .size:           4
        .value_kind:     by_value
      - .offset:         124
        .size:           4
        .value_kind:     by_value
      - .offset:         128
        .size:           4
        .value_kind:     by_value
      - .offset:         132
        .size:           4
        .value_kind:     by_value
      - .offset:         136
        .size:           4
        .value_kind:     by_value
      - .offset:         140
        .size:           4
        .value_kind:     by_value
      - .offset:         144
        .size:           4
        .value_kind:     by_value
      - .offset:         152
        .size:           8
        .value_kind:     by_value
      - .offset:         160
        .size:           4
        .value_kind:     by_value
      - .offset:         164
        .size:           4
        .value_kind:     by_value
      - .offset:         168
        .size:           8
        .value_kind:     by_value
      - .offset:         176
        .size:           4
        .value_kind:     by_value
      - .offset:         180
        .size:           4
        .value_kind:     by_value
      - .offset:         184
        .size:           4
        .value_kind:     by_value
      - .offset:         188
        .size:           4
        .value_kind:     by_value
      - .offset:         192
        .size:           4
        .value_kind:     by_value
      - .offset:         200
        .size:           8
        .value_kind:     by_value
      - .offset:         208
        .size:           4
        .value_kind:     hidden_block_count_x
      - .offset:         212
        .size:           4
        .value_kind:     hidden_block_count_y
      - .offset:         216
        .size:           4
        .value_kind:     hidden_block_count_z
      - .offset:         220
        .size:           2
        .value_kind:     hidden_group_size_x
      - .offset:         222
        .size:           2
        .value_kind:     hidden_group_size_y
      - .offset:         224
        .size:           2
        .value_kind:     hidden_group_size_z
      - .offset:         226
        .size:           2
        .value_kind:     hidden_remainder_x
      - .offset:         228
        .size:           2
        .value_kind:     hidden_remainder_y
      - .offset:         230
        .size:           2
        .value_kind:     hidden_remainder_z
      - .offset:         248
        .size:           8
        .value_kind:     hidden_global_offset_x
      - .offset:         256
        .size:           8
        .value_kind:     hidden_global_offset_y
      - .offset:         264
        .size:           8
        .value_kind:     hidden_global_offset_z
      - .offset:         272
        .size:           2
        .value_kind:     hidden_grid_dims
      - .offset:         288
        .size:           8
        .value_kind:     hidden_hostcall_buffer
    .group_segment_fixed_size: 0
    .kernarg_segment_align: 8
    .kernarg_segment_size: 464
    .language:       OpenCL C
    .language_version:
      - 2
      - 0
    .max_flat_workgroup_size: 128
    .name:           _ZL18flash_attn_ext_f16ILi128ELi128ELi32ELi1ELb1ELb0EEvPKcS1_S1_S1_S1_PKiPfP15HIP_vector_typeIfLj2EEffffjfiS5_IjLj3EEiiiiiiiiiiiliiliiiiil
    .private_segment_fixed_size: 16
    .sgpr_count:     36
    .sgpr_spill_count: 0
    .symbol:         _ZL18flash_attn_ext_f16ILi128ELi128ELi32ELi1ELb1ELb0EEvPKcS1_S1_S1_S1_PKiPfP15HIP_vector_typeIfLj2EEffffjfiS5_IjLj3EEiiiiiiiiiiiliiliiiiil.kd
    .uniform_work_group_size: 1
    .uses_dynamic_stack: false
    .vgpr_count:     50
    .vgpr_spill_count: 0
    .wavefront_size: 32
  - .args:
      - .address_space:  global
        .offset:         0
        .size:           8
        .value_kind:     global_buffer
      - .address_space:  global
        .offset:         8
        .size:           8
        .value_kind:     global_buffer
      - .offset:         16
        .size:           4
        .value_kind:     by_value
      - .offset:         20
        .size:           4
        .value_kind:     by_value
      - .offset:         24
        .size:           4
        .value_kind:     by_value
      - .offset:         28
        .size:           4
        .value_kind:     by_value
      - .offset:         32
        .size:           4
        .value_kind:     by_value
      - .offset:         36
        .size:           4
        .value_kind:     by_value
      - .offset:         40
        .size:           12
        .value_kind:     by_value
      - .offset:         52
        .size:           12
        .value_kind:     by_value
      - .offset:         64
        .size:           12
        .value_kind:     by_value
    .group_segment_fixed_size: 0
    .kernarg_segment_align: 8
    .kernarg_segment_size: 76
    .language:       OpenCL C
    .language_version:
      - 2
      - 0
    .max_flat_workgroup_size: 128
    .name:           _ZL33flash_attn_stream_k_fixup_uniformILi128ELi32ELi1EEvPfPK15HIP_vector_typeIfLj2EEiiiiiiS1_IjLj3EES5_S5_
    .private_segment_fixed_size: 0
    .sgpr_count:     23
    .sgpr_spill_count: 0
    .symbol:         _ZL33flash_attn_stream_k_fixup_uniformILi128ELi32ELi1EEvPfPK15HIP_vector_typeIfLj2EEiiiiiiS1_IjLj3EES5_S5_.kd
    .uniform_work_group_size: 1
    .uses_dynamic_stack: false
    .vgpr_count:     12
    .vgpr_spill_count: 0
    .wavefront_size: 32
  - .args:
      - .address_space:  global
        .offset:         0
        .size:           8
        .value_kind:     global_buffer
      - .address_space:  global
        .offset:         8
        .size:           8
        .value_kind:     global_buffer
      - .offset:         16
        .size:           4
        .value_kind:     by_value
      - .offset:         20
        .size:           4
        .value_kind:     by_value
      - .offset:         24
        .size:           4
        .value_kind:     by_value
      - .offset:         28
        .size:           4
        .value_kind:     by_value
      - .offset:         32
        .size:           12
        .value_kind:     by_value
      - .offset:         44
        .size:           12
        .value_kind:     by_value
      - .offset:         56
        .size:           12
        .value_kind:     by_value
      - .offset:         68
        .size:           12
        .value_kind:     by_value
      - .offset:         80
        .size:           4
        .value_kind:     hidden_block_count_x
      - .offset:         84
        .size:           4
        .value_kind:     hidden_block_count_y
      - .offset:         88
        .size:           4
        .value_kind:     hidden_block_count_z
      - .offset:         92
        .size:           2
        .value_kind:     hidden_group_size_x
      - .offset:         94
        .size:           2
        .value_kind:     hidden_group_size_y
      - .offset:         96
        .size:           2
        .value_kind:     hidden_group_size_z
      - .offset:         98
        .size:           2
        .value_kind:     hidden_remainder_x
      - .offset:         100
        .size:           2
        .value_kind:     hidden_remainder_y
      - .offset:         102
        .size:           2
        .value_kind:     hidden_remainder_z
      - .offset:         120
        .size:           8
        .value_kind:     hidden_global_offset_x
      - .offset:         128
        .size:           8
        .value_kind:     hidden_global_offset_y
      - .offset:         136
        .size:           8
        .value_kind:     hidden_global_offset_z
      - .offset:         144
        .size:           2
        .value_kind:     hidden_grid_dims
    .group_segment_fixed_size: 0
    .kernarg_segment_align: 8
    .kernarg_segment_size: 336
    .language:       OpenCL C
    .language_version:
      - 2
      - 0
    .max_flat_workgroup_size: 128
    .name:           _ZL33flash_attn_stream_k_fixup_generalILi128ELi32ELi1EEvPfPK15HIP_vector_typeIfLj2EEiiiiS1_IjLj3EES5_S5_S5_
    .private_segment_fixed_size: 0
    .sgpr_count:     48
    .sgpr_spill_count: 0
    .symbol:         _ZL33flash_attn_stream_k_fixup_generalILi128ELi32ELi1EEvPfPK15HIP_vector_typeIfLj2EEiiiiS1_IjLj3EES5_S5_S5_.kd
    .uniform_work_group_size: 1
    .uses_dynamic_stack: false
    .vgpr_count:     12
    .vgpr_spill_count: 0
    .wavefront_size: 32
  - .args:
      - .address_space:  global
        .offset:         0
        .size:           8
        .value_kind:     global_buffer
      - .address_space:  global
        .offset:         8
        .size:           8
        .value_kind:     global_buffer
      - .address_space:  global
        .offset:         16
        .size:           8
        .value_kind:     global_buffer
      - .offset:         24
        .size:           4
        .value_kind:     by_value
      - .offset:         32
        .size:           4
        .value_kind:     hidden_block_count_x
      - .offset:         36
        .size:           4
        .value_kind:     hidden_block_count_y
      - .offset:         40
        .size:           4
        .value_kind:     hidden_block_count_z
      - .offset:         44
        .size:           2
        .value_kind:     hidden_group_size_x
      - .offset:         46
        .size:           2
        .value_kind:     hidden_group_size_y
      - .offset:         48
        .size:           2
        .value_kind:     hidden_group_size_z
      - .offset:         50
        .size:           2
        .value_kind:     hidden_remainder_x
      - .offset:         52
        .size:           2
        .value_kind:     hidden_remainder_y
      - .offset:         54
        .size:           2
        .value_kind:     hidden_remainder_z
      - .offset:         72
        .size:           8
        .value_kind:     hidden_global_offset_x
      - .offset:         80
        .size:           8
        .value_kind:     hidden_global_offset_y
      - .offset:         88
        .size:           8
        .value_kind:     hidden_global_offset_z
      - .offset:         96
        .size:           2
        .value_kind:     hidden_grid_dims
      - .offset:         152
        .size:           4
        .value_kind:     hidden_dynamic_lds_size
    .group_segment_fixed_size: 0
    .kernarg_segment_align: 8
    .kernarg_segment_size: 288
    .language:       OpenCL C
    .language_version:
      - 2
      - 0
    .max_flat_workgroup_size: 128
    .name:           _ZL26flash_attn_combine_resultsILi128EEvPKfPK15HIP_vector_typeIfLj2EEPfi
    .private_segment_fixed_size: 0
    .sgpr_count:     45
    .sgpr_spill_count: 0
    .symbol:         _ZL26flash_attn_combine_resultsILi128EEvPKfPK15HIP_vector_typeIfLj2EEPfi.kd
    .uniform_work_group_size: 1
    .uses_dynamic_stack: false
    .vgpr_count:     36
    .vgpr_spill_count: 0
    .wavefront_size: 32
  - .args:
      - .address_space:  global
        .offset:         0
        .size:           8
        .value_kind:     global_buffer
      - .address_space:  global
        .offset:         8
        .size:           8
        .value_kind:     global_buffer
      - .address_space:  global
        .offset:         16
        .size:           8
        .value_kind:     global_buffer
      - .address_space:  global
        .offset:         24
        .size:           8
        .value_kind:     global_buffer
      - .address_space:  global
        .offset:         32
        .size:           8
        .value_kind:     global_buffer
      - .address_space:  global
        .offset:         40
        .size:           8
        .value_kind:     global_buffer
      - .address_space:  global
        .offset:         48
        .size:           8
        .value_kind:     global_buffer
      - .address_space:  global
        .offset:         56
        .size:           8
        .value_kind:     global_buffer
      - .offset:         64
        .size:           4
        .value_kind:     by_value
      - .offset:         68
        .size:           4
        .value_kind:     by_value
      - .offset:         72
        .size:           4
        .value_kind:     by_value
      - .offset:         76
        .size:           4
        .value_kind:     by_value
      - .offset:         80
        .size:           4
        .value_kind:     by_value
      - .offset:         84
        .size:           4
        .value_kind:     by_value
      - .offset:         88
        .size:           4
        .value_kind:     by_value
      - .offset:         92
        .size:           12
        .value_kind:     by_value
      - .offset:         104
        .size:           4
        .value_kind:     by_value
      - .offset:         108
        .size:           4
        .value_kind:     by_value
      - .offset:         112
        .size:           4
        .value_kind:     by_value
      - .offset:         116
        .size:           4
        .value_kind:     by_value
      - .offset:         120
        .size:           4
        .value_kind:     by_value
      - .offset:         124
        .size:           4
        .value_kind:     by_value
      - .offset:         128
        .size:           4
        .value_kind:     by_value
      - .offset:         132
        .size:           4
        .value_kind:     by_value
      - .offset:         136
        .size:           4
        .value_kind:     by_value
      - .offset:         140
        .size:           4
        .value_kind:     by_value
      - .offset:         144
        .size:           4
        .value_kind:     by_value
      - .offset:         152
        .size:           8
        .value_kind:     by_value
      - .offset:         160
        .size:           4
        .value_kind:     by_value
      - .offset:         164
        .size:           4
        .value_kind:     by_value
      - .offset:         168
        .size:           8
        .value_kind:     by_value
      - .offset:         176
        .size:           4
        .value_kind:     by_value
      - .offset:         180
        .size:           4
        .value_kind:     by_value
      - .offset:         184
        .size:           4
        .value_kind:     by_value
      - .offset:         188
        .size:           4
        .value_kind:     by_value
      - .offset:         192
        .size:           4
        .value_kind:     by_value
      - .offset:         200
        .size:           8
        .value_kind:     by_value
      - .offset:         208
        .size:           4
        .value_kind:     hidden_block_count_x
      - .offset:         212
        .size:           4
        .value_kind:     hidden_block_count_y
      - .offset:         216
        .size:           4
        .value_kind:     hidden_block_count_z
      - .offset:         220
        .size:           2
        .value_kind:     hidden_group_size_x
      - .offset:         222
        .size:           2
        .value_kind:     hidden_group_size_y
      - .offset:         224
        .size:           2
        .value_kind:     hidden_group_size_z
      - .offset:         226
        .size:           2
        .value_kind:     hidden_remainder_x
      - .offset:         228
        .size:           2
        .value_kind:     hidden_remainder_y
      - .offset:         230
        .size:           2
        .value_kind:     hidden_remainder_z
      - .offset:         248
        .size:           8
        .value_kind:     hidden_global_offset_x
      - .offset:         256
        .size:           8
        .value_kind:     hidden_global_offset_y
      - .offset:         264
        .size:           8
        .value_kind:     hidden_global_offset_z
      - .offset:         272
        .size:           2
        .value_kind:     hidden_grid_dims
      - .offset:         288
        .size:           8
        .value_kind:     hidden_hostcall_buffer
    .group_segment_fixed_size: 0
    .kernarg_segment_align: 8
    .kernarg_segment_size: 464
    .language:       OpenCL C
    .language_version:
      - 2
      - 0
    .max_flat_workgroup_size: 128
    .name:           _ZL18flash_attn_ext_f16ILi256ELi256ELi32ELi1ELb0ELb0EEvPKcS1_S1_S1_S1_PKiPfP15HIP_vector_typeIfLj2EEffffjfiS5_IjLj3EEiiiiiiiiiiiliiliiiiil
    .private_segment_fixed_size: 16
    .sgpr_count:     36
    .sgpr_spill_count: 0
    .symbol:         _ZL18flash_attn_ext_f16ILi256ELi256ELi32ELi1ELb0ELb0EEvPKcS1_S1_S1_S1_PKiPfP15HIP_vector_typeIfLj2EEffffjfiS5_IjLj3EEiiiiiiiiiiiliiliiiiil.kd
    .uniform_work_group_size: 1
    .uses_dynamic_stack: false
    .vgpr_count:     50
    .vgpr_spill_count: 0
    .wavefront_size: 32
  - .args:
      - .address_space:  global
        .offset:         0
        .size:           8
        .value_kind:     global_buffer
      - .address_space:  global
        .offset:         8
        .size:           8
        .value_kind:     global_buffer
      - .address_space:  global
        .offset:         16
        .size:           8
        .value_kind:     global_buffer
      - .address_space:  global
        .offset:         24
        .size:           8
        .value_kind:     global_buffer
      - .address_space:  global
        .offset:         32
        .size:           8
        .value_kind:     global_buffer
      - .address_space:  global
        .offset:         40
        .size:           8
        .value_kind:     global_buffer
      - .address_space:  global
        .offset:         48
        .size:           8
        .value_kind:     global_buffer
      - .address_space:  global
        .offset:         56
        .size:           8
        .value_kind:     global_buffer
      - .offset:         64
        .size:           4
        .value_kind:     by_value
      - .offset:         68
        .size:           4
        .value_kind:     by_value
      - .offset:         72
        .size:           4
        .value_kind:     by_value
      - .offset:         76
        .size:           4
        .value_kind:     by_value
      - .offset:         80
        .size:           4
        .value_kind:     by_value
      - .offset:         84
        .size:           4
        .value_kind:     by_value
      - .offset:         88
        .size:           4
        .value_kind:     by_value
      - .offset:         92
        .size:           12
        .value_kind:     by_value
      - .offset:         104
        .size:           4
        .value_kind:     by_value
      - .offset:         108
        .size:           4
        .value_kind:     by_value
      - .offset:         112
        .size:           4
        .value_kind:     by_value
      - .offset:         116
        .size:           4
        .value_kind:     by_value
      - .offset:         120
        .size:           4
        .value_kind:     by_value
      - .offset:         124
        .size:           4
        .value_kind:     by_value
      - .offset:         128
        .size:           4
        .value_kind:     by_value
      - .offset:         132
        .size:           4
        .value_kind:     by_value
      - .offset:         136
        .size:           4
        .value_kind:     by_value
      - .offset:         140
        .size:           4
        .value_kind:     by_value
      - .offset:         144
        .size:           4
        .value_kind:     by_value
      - .offset:         152
        .size:           8
        .value_kind:     by_value
      - .offset:         160
        .size:           4
        .value_kind:     by_value
      - .offset:         164
        .size:           4
        .value_kind:     by_value
      - .offset:         168
        .size:           8
        .value_kind:     by_value
      - .offset:         176
        .size:           4
        .value_kind:     by_value
      - .offset:         180
        .size:           4
        .value_kind:     by_value
      - .offset:         184
        .size:           4
        .value_kind:     by_value
      - .offset:         188
        .size:           4
        .value_kind:     by_value
      - .offset:         192
        .size:           4
        .value_kind:     by_value
      - .offset:         200
        .size:           8
        .value_kind:     by_value
      - .offset:         208
        .size:           4
        .value_kind:     hidden_block_count_x
      - .offset:         212
        .size:           4
        .value_kind:     hidden_block_count_y
      - .offset:         216
        .size:           4
        .value_kind:     hidden_block_count_z
      - .offset:         220
        .size:           2
        .value_kind:     hidden_group_size_x
      - .offset:         222
        .size:           2
        .value_kind:     hidden_group_size_y
      - .offset:         224
        .size:           2
        .value_kind:     hidden_group_size_z
      - .offset:         226
        .size:           2
        .value_kind:     hidden_remainder_x
      - .offset:         228
        .size:           2
        .value_kind:     hidden_remainder_y
      - .offset:         230
        .size:           2
        .value_kind:     hidden_remainder_z
      - .offset:         248
        .size:           8
        .value_kind:     hidden_global_offset_x
      - .offset:         256
        .size:           8
        .value_kind:     hidden_global_offset_y
      - .offset:         264
        .size:           8
        .value_kind:     hidden_global_offset_z
      - .offset:         272
        .size:           2
        .value_kind:     hidden_grid_dims
      - .offset:         288
        .size:           8
        .value_kind:     hidden_hostcall_buffer
    .group_segment_fixed_size: 0
    .kernarg_segment_align: 8
    .kernarg_segment_size: 464
    .language:       OpenCL C
    .language_version:
      - 2
      - 0
    .max_flat_workgroup_size: 128
    .name:           _ZL18flash_attn_ext_f16ILi256ELi256ELi32ELi1ELb1ELb0EEvPKcS1_S1_S1_S1_PKiPfP15HIP_vector_typeIfLj2EEffffjfiS5_IjLj3EEiiiiiiiiiiiliiliiiiil
    .private_segment_fixed_size: 16
    .sgpr_count:     36
    .sgpr_spill_count: 0
    .symbol:         _ZL18flash_attn_ext_f16ILi256ELi256ELi32ELi1ELb1ELb0EEvPKcS1_S1_S1_S1_PKiPfP15HIP_vector_typeIfLj2EEffffjfiS5_IjLj3EEiiiiiiiiiiiliiliiiiil.kd
    .uniform_work_group_size: 1
    .uses_dynamic_stack: false
    .vgpr_count:     50
    .vgpr_spill_count: 0
    .wavefront_size: 32
  - .args:
      - .address_space:  global
        .offset:         0
        .size:           8
        .value_kind:     global_buffer
      - .address_space:  global
        .offset:         8
        .size:           8
        .value_kind:     global_buffer
      - .offset:         16
        .size:           4
        .value_kind:     by_value
      - .offset:         20
        .size:           4
        .value_kind:     by_value
      - .offset:         24
        .size:           4
        .value_kind:     by_value
      - .offset:         28
        .size:           4
        .value_kind:     by_value
      - .offset:         32
        .size:           4
        .value_kind:     by_value
      - .offset:         36
        .size:           4
        .value_kind:     by_value
      - .offset:         40
        .size:           12
        .value_kind:     by_value
      - .offset:         52
        .size:           12
        .value_kind:     by_value
      - .offset:         64
        .size:           12
        .value_kind:     by_value
    .group_segment_fixed_size: 0
    .kernarg_segment_align: 8
    .kernarg_segment_size: 76
    .language:       OpenCL C
    .language_version:
      - 2
      - 0
    .max_flat_workgroup_size: 256
    .name:           _ZL33flash_attn_stream_k_fixup_uniformILi256ELi32ELi1EEvPfPK15HIP_vector_typeIfLj2EEiiiiiiS1_IjLj3EES5_S5_
    .private_segment_fixed_size: 0
    .sgpr_count:     23
    .sgpr_spill_count: 0
    .symbol:         _ZL33flash_attn_stream_k_fixup_uniformILi256ELi32ELi1EEvPfPK15HIP_vector_typeIfLj2EEiiiiiiS1_IjLj3EES5_S5_.kd
    .uniform_work_group_size: 1
    .uses_dynamic_stack: false
    .vgpr_count:     12
    .vgpr_spill_count: 0
    .wavefront_size: 32
  - .args:
      - .address_space:  global
        .offset:         0
        .size:           8
        .value_kind:     global_buffer
      - .address_space:  global
        .offset:         8
        .size:           8
        .value_kind:     global_buffer
      - .offset:         16
        .size:           4
        .value_kind:     by_value
      - .offset:         20
        .size:           4
        .value_kind:     by_value
      - .offset:         24
        .size:           4
        .value_kind:     by_value
      - .offset:         28
        .size:           4
        .value_kind:     by_value
      - .offset:         32
        .size:           12
        .value_kind:     by_value
      - .offset:         44
        .size:           12
        .value_kind:     by_value
      - .offset:         56
        .size:           12
        .value_kind:     by_value
      - .offset:         68
        .size:           12
        .value_kind:     by_value
      - .offset:         80
        .size:           4
        .value_kind:     hidden_block_count_x
      - .offset:         84
        .size:           4
        .value_kind:     hidden_block_count_y
      - .offset:         88
        .size:           4
        .value_kind:     hidden_block_count_z
      - .offset:         92
        .size:           2
        .value_kind:     hidden_group_size_x
      - .offset:         94
        .size:           2
        .value_kind:     hidden_group_size_y
      - .offset:         96
        .size:           2
        .value_kind:     hidden_group_size_z
      - .offset:         98
        .size:           2
        .value_kind:     hidden_remainder_x
      - .offset:         100
        .size:           2
        .value_kind:     hidden_remainder_y
      - .offset:         102
        .size:           2
        .value_kind:     hidden_remainder_z
      - .offset:         120
        .size:           8
        .value_kind:     hidden_global_offset_x
      - .offset:         128
        .size:           8
        .value_kind:     hidden_global_offset_y
      - .offset:         136
        .size:           8
        .value_kind:     hidden_global_offset_z
      - .offset:         144
        .size:           2
        .value_kind:     hidden_grid_dims
    .group_segment_fixed_size: 0
    .kernarg_segment_align: 8
    .kernarg_segment_size: 336
    .language:       OpenCL C
    .language_version:
      - 2
      - 0
    .max_flat_workgroup_size: 256
    .name:           _ZL33flash_attn_stream_k_fixup_generalILi256ELi32ELi1EEvPfPK15HIP_vector_typeIfLj2EEiiiiS1_IjLj3EES5_S5_S5_
    .private_segment_fixed_size: 0
    .sgpr_count:     48
    .sgpr_spill_count: 0
    .symbol:         _ZL33flash_attn_stream_k_fixup_generalILi256ELi32ELi1EEvPfPK15HIP_vector_typeIfLj2EEiiiiS1_IjLj3EES5_S5_S5_.kd
    .uniform_work_group_size: 1
    .uses_dynamic_stack: false
    .vgpr_count:     12
    .vgpr_spill_count: 0
    .wavefront_size: 32
  - .args:
      - .address_space:  global
        .offset:         0
        .size:           8
        .value_kind:     global_buffer
      - .address_space:  global
        .offset:         8
        .size:           8
        .value_kind:     global_buffer
      - .address_space:  global
        .offset:         16
        .size:           8
        .value_kind:     global_buffer
      - .offset:         24
        .size:           4
        .value_kind:     by_value
      - .offset:         32
        .size:           4
        .value_kind:     hidden_block_count_x
      - .offset:         36
        .size:           4
        .value_kind:     hidden_block_count_y
      - .offset:         40
        .size:           4
        .value_kind:     hidden_block_count_z
      - .offset:         44
        .size:           2
        .value_kind:     hidden_group_size_x
      - .offset:         46
        .size:           2
        .value_kind:     hidden_group_size_y
      - .offset:         48
        .size:           2
        .value_kind:     hidden_group_size_z
      - .offset:         50
        .size:           2
        .value_kind:     hidden_remainder_x
      - .offset:         52
        .size:           2
        .value_kind:     hidden_remainder_y
      - .offset:         54
        .size:           2
        .value_kind:     hidden_remainder_z
      - .offset:         72
        .size:           8
        .value_kind:     hidden_global_offset_x
      - .offset:         80
        .size:           8
        .value_kind:     hidden_global_offset_y
      - .offset:         88
        .size:           8
        .value_kind:     hidden_global_offset_z
      - .offset:         96
        .size:           2
        .value_kind:     hidden_grid_dims
      - .offset:         152
        .size:           4
        .value_kind:     hidden_dynamic_lds_size
    .group_segment_fixed_size: 0
    .kernarg_segment_align: 8
    .kernarg_segment_size: 288
    .language:       OpenCL C
    .language_version:
      - 2
      - 0
    .max_flat_workgroup_size: 256
    .name:           _ZL26flash_attn_combine_resultsILi256EEvPKfPK15HIP_vector_typeIfLj2EEPfi
    .private_segment_fixed_size: 0
    .sgpr_count:     45
    .sgpr_spill_count: 0
    .symbol:         _ZL26flash_attn_combine_resultsILi256EEvPKfPK15HIP_vector_typeIfLj2EEPfi.kd
    .uniform_work_group_size: 1
    .uses_dynamic_stack: false
    .vgpr_count:     36
    .vgpr_spill_count: 0
    .wavefront_size: 32
amdhsa.target:   amdgcn-amd-amdhsa--gfx1250
amdhsa.version:
  - 1
  - 2
...

	.end_amdgpu_metadata
